;; amdgpu-corpus repo=ROCm/rocFFT kind=compiled arch=gfx1100 opt=O3
	.text
	.amdgcn_target "amdgcn-amd-amdhsa--gfx1100"
	.amdhsa_code_object_version 6
	.protected	fft_rtc_fwd_len1248_factors_2_2_13_2_3_2_2_wgs_52_tpt_52_halfLds_dp_ip_CI_unitstride_sbrr_R2C_dirReg ; -- Begin function fft_rtc_fwd_len1248_factors_2_2_13_2_3_2_2_wgs_52_tpt_52_halfLds_dp_ip_CI_unitstride_sbrr_R2C_dirReg
	.globl	fft_rtc_fwd_len1248_factors_2_2_13_2_3_2_2_wgs_52_tpt_52_halfLds_dp_ip_CI_unitstride_sbrr_R2C_dirReg
	.p2align	8
	.type	fft_rtc_fwd_len1248_factors_2_2_13_2_3_2_2_wgs_52_tpt_52_halfLds_dp_ip_CI_unitstride_sbrr_R2C_dirReg,@function
fft_rtc_fwd_len1248_factors_2_2_13_2_3_2_2_wgs_52_tpt_52_halfLds_dp_ip_CI_unitstride_sbrr_R2C_dirReg: ; @fft_rtc_fwd_len1248_factors_2_2_13_2_3_2_2_wgs_52_tpt_52_halfLds_dp_ip_CI_unitstride_sbrr_R2C_dirReg
; %bb.0:
	s_clause 0x2
	s_load_b128 s[4:7], s[0:1], 0x0
	s_load_b64 s[8:9], s[0:1], 0x50
	s_load_b64 s[10:11], s[0:1], 0x18
	v_mul_u32_u24_e32 v1, 0x4ed, v0
	v_mov_b32_e32 v3, 0
	v_mov_b32_e32 v4, 0
	s_delay_alu instid0(VALU_DEP_3) | instskip(SKIP_1) | instid1(VALU_DEP_1)
	v_lshrrev_b32_e32 v2, 16, v1
	v_mov_b32_e32 v1, 0
	v_dual_mov_b32 v6, v1 :: v_dual_add_nc_u32 v5, s15, v2
	s_waitcnt lgkmcnt(0)
	v_cmp_lt_u64_e64 s2, s[6:7], 2
	s_delay_alu instid0(VALU_DEP_1)
	s_and_b32 vcc_lo, exec_lo, s2
	s_cbranch_vccnz .LBB0_8
; %bb.1:
	s_load_b64 s[2:3], s[0:1], 0x10
	v_mov_b32_e32 v3, 0
	s_add_u32 s12, s10, 8
	v_mov_b32_e32 v4, 0
	s_addc_u32 s13, s11, 0
	s_mov_b64 s[16:17], 1
	s_waitcnt lgkmcnt(0)
	s_add_u32 s14, s2, 8
	s_addc_u32 s15, s3, 0
.LBB0_2:                                ; =>This Inner Loop Header: Depth=1
	s_load_b64 s[18:19], s[14:15], 0x0
                                        ; implicit-def: $vgpr7_vgpr8
	s_mov_b32 s2, exec_lo
	s_waitcnt lgkmcnt(0)
	v_or_b32_e32 v2, s19, v6
	s_delay_alu instid0(VALU_DEP_1)
	v_cmpx_ne_u64_e32 0, v[1:2]
	s_xor_b32 s3, exec_lo, s2
	s_cbranch_execz .LBB0_4
; %bb.3:                                ;   in Loop: Header=BB0_2 Depth=1
	v_cvt_f32_u32_e32 v2, s18
	v_cvt_f32_u32_e32 v7, s19
	s_sub_u32 s2, 0, s18
	s_subb_u32 s20, 0, s19
	s_delay_alu instid0(VALU_DEP_1) | instskip(NEXT) | instid1(VALU_DEP_1)
	v_fmac_f32_e32 v2, 0x4f800000, v7
	v_rcp_f32_e32 v2, v2
	s_waitcnt_depctr 0xfff
	v_mul_f32_e32 v2, 0x5f7ffffc, v2
	s_delay_alu instid0(VALU_DEP_1) | instskip(NEXT) | instid1(VALU_DEP_1)
	v_mul_f32_e32 v7, 0x2f800000, v2
	v_trunc_f32_e32 v7, v7
	s_delay_alu instid0(VALU_DEP_1) | instskip(SKIP_1) | instid1(VALU_DEP_2)
	v_fmac_f32_e32 v2, 0xcf800000, v7
	v_cvt_u32_f32_e32 v7, v7
	v_cvt_u32_f32_e32 v2, v2
	s_delay_alu instid0(VALU_DEP_2) | instskip(NEXT) | instid1(VALU_DEP_2)
	v_mul_lo_u32 v8, s2, v7
	v_mul_hi_u32 v9, s2, v2
	v_mul_lo_u32 v10, s20, v2
	s_delay_alu instid0(VALU_DEP_2) | instskip(SKIP_1) | instid1(VALU_DEP_2)
	v_add_nc_u32_e32 v8, v9, v8
	v_mul_lo_u32 v9, s2, v2
	v_add_nc_u32_e32 v8, v8, v10
	s_delay_alu instid0(VALU_DEP_2) | instskip(NEXT) | instid1(VALU_DEP_2)
	v_mul_hi_u32 v10, v2, v9
	v_mul_lo_u32 v11, v2, v8
	v_mul_hi_u32 v12, v2, v8
	v_mul_hi_u32 v13, v7, v9
	v_mul_lo_u32 v9, v7, v9
	v_mul_hi_u32 v14, v7, v8
	v_mul_lo_u32 v8, v7, v8
	v_add_co_u32 v10, vcc_lo, v10, v11
	v_add_co_ci_u32_e32 v11, vcc_lo, 0, v12, vcc_lo
	s_delay_alu instid0(VALU_DEP_2) | instskip(NEXT) | instid1(VALU_DEP_2)
	v_add_co_u32 v9, vcc_lo, v10, v9
	v_add_co_ci_u32_e32 v9, vcc_lo, v11, v13, vcc_lo
	v_add_co_ci_u32_e32 v10, vcc_lo, 0, v14, vcc_lo
	s_delay_alu instid0(VALU_DEP_2) | instskip(NEXT) | instid1(VALU_DEP_2)
	v_add_co_u32 v8, vcc_lo, v9, v8
	v_add_co_ci_u32_e32 v9, vcc_lo, 0, v10, vcc_lo
	s_delay_alu instid0(VALU_DEP_2) | instskip(NEXT) | instid1(VALU_DEP_2)
	v_add_co_u32 v2, vcc_lo, v2, v8
	v_add_co_ci_u32_e32 v7, vcc_lo, v7, v9, vcc_lo
	s_delay_alu instid0(VALU_DEP_2) | instskip(SKIP_1) | instid1(VALU_DEP_3)
	v_mul_hi_u32 v8, s2, v2
	v_mul_lo_u32 v10, s20, v2
	v_mul_lo_u32 v9, s2, v7
	s_delay_alu instid0(VALU_DEP_1) | instskip(SKIP_1) | instid1(VALU_DEP_2)
	v_add_nc_u32_e32 v8, v8, v9
	v_mul_lo_u32 v9, s2, v2
	v_add_nc_u32_e32 v8, v8, v10
	s_delay_alu instid0(VALU_DEP_2) | instskip(NEXT) | instid1(VALU_DEP_2)
	v_mul_hi_u32 v10, v2, v9
	v_mul_lo_u32 v11, v2, v8
	v_mul_hi_u32 v12, v2, v8
	v_mul_hi_u32 v13, v7, v9
	v_mul_lo_u32 v9, v7, v9
	v_mul_hi_u32 v14, v7, v8
	v_mul_lo_u32 v8, v7, v8
	v_add_co_u32 v10, vcc_lo, v10, v11
	v_add_co_ci_u32_e32 v11, vcc_lo, 0, v12, vcc_lo
	s_delay_alu instid0(VALU_DEP_2) | instskip(NEXT) | instid1(VALU_DEP_2)
	v_add_co_u32 v9, vcc_lo, v10, v9
	v_add_co_ci_u32_e32 v9, vcc_lo, v11, v13, vcc_lo
	v_add_co_ci_u32_e32 v10, vcc_lo, 0, v14, vcc_lo
	s_delay_alu instid0(VALU_DEP_2) | instskip(NEXT) | instid1(VALU_DEP_2)
	v_add_co_u32 v8, vcc_lo, v9, v8
	v_add_co_ci_u32_e32 v9, vcc_lo, 0, v10, vcc_lo
	s_delay_alu instid0(VALU_DEP_2) | instskip(NEXT) | instid1(VALU_DEP_2)
	v_add_co_u32 v2, vcc_lo, v2, v8
	v_add_co_ci_u32_e32 v13, vcc_lo, v7, v9, vcc_lo
	s_delay_alu instid0(VALU_DEP_2) | instskip(SKIP_1) | instid1(VALU_DEP_3)
	v_mul_hi_u32 v14, v5, v2
	v_mad_u64_u32 v[9:10], null, v6, v2, 0
	v_mad_u64_u32 v[7:8], null, v5, v13, 0
	;; [unrolled: 1-line block ×3, first 2 shown]
	s_delay_alu instid0(VALU_DEP_2) | instskip(NEXT) | instid1(VALU_DEP_3)
	v_add_co_u32 v2, vcc_lo, v14, v7
	v_add_co_ci_u32_e32 v7, vcc_lo, 0, v8, vcc_lo
	s_delay_alu instid0(VALU_DEP_2) | instskip(NEXT) | instid1(VALU_DEP_2)
	v_add_co_u32 v2, vcc_lo, v2, v9
	v_add_co_ci_u32_e32 v2, vcc_lo, v7, v10, vcc_lo
	v_add_co_ci_u32_e32 v7, vcc_lo, 0, v12, vcc_lo
	s_delay_alu instid0(VALU_DEP_2) | instskip(NEXT) | instid1(VALU_DEP_2)
	v_add_co_u32 v2, vcc_lo, v2, v11
	v_add_co_ci_u32_e32 v9, vcc_lo, 0, v7, vcc_lo
	s_delay_alu instid0(VALU_DEP_2) | instskip(SKIP_1) | instid1(VALU_DEP_3)
	v_mul_lo_u32 v10, s19, v2
	v_mad_u64_u32 v[7:8], null, s18, v2, 0
	v_mul_lo_u32 v11, s18, v9
	s_delay_alu instid0(VALU_DEP_2) | instskip(NEXT) | instid1(VALU_DEP_2)
	v_sub_co_u32 v7, vcc_lo, v5, v7
	v_add3_u32 v8, v8, v11, v10
	s_delay_alu instid0(VALU_DEP_1) | instskip(NEXT) | instid1(VALU_DEP_1)
	v_sub_nc_u32_e32 v10, v6, v8
	v_subrev_co_ci_u32_e64 v10, s2, s19, v10, vcc_lo
	v_add_co_u32 v11, s2, v2, 2
	s_delay_alu instid0(VALU_DEP_1) | instskip(SKIP_3) | instid1(VALU_DEP_3)
	v_add_co_ci_u32_e64 v12, s2, 0, v9, s2
	v_sub_co_u32 v13, s2, v7, s18
	v_sub_co_ci_u32_e32 v8, vcc_lo, v6, v8, vcc_lo
	v_subrev_co_ci_u32_e64 v10, s2, 0, v10, s2
	v_cmp_le_u32_e32 vcc_lo, s18, v13
	s_delay_alu instid0(VALU_DEP_3) | instskip(SKIP_1) | instid1(VALU_DEP_4)
	v_cmp_eq_u32_e64 s2, s19, v8
	v_cndmask_b32_e64 v13, 0, -1, vcc_lo
	v_cmp_le_u32_e32 vcc_lo, s19, v10
	v_cndmask_b32_e64 v14, 0, -1, vcc_lo
	v_cmp_le_u32_e32 vcc_lo, s18, v7
	;; [unrolled: 2-line block ×3, first 2 shown]
	v_cndmask_b32_e64 v15, 0, -1, vcc_lo
	v_cmp_eq_u32_e32 vcc_lo, s19, v10
	s_delay_alu instid0(VALU_DEP_2) | instskip(SKIP_3) | instid1(VALU_DEP_3)
	v_cndmask_b32_e64 v7, v15, v7, s2
	v_cndmask_b32_e32 v10, v14, v13, vcc_lo
	v_add_co_u32 v13, vcc_lo, v2, 1
	v_add_co_ci_u32_e32 v14, vcc_lo, 0, v9, vcc_lo
	v_cmp_ne_u32_e32 vcc_lo, 0, v10
	s_delay_alu instid0(VALU_DEP_2) | instskip(NEXT) | instid1(VALU_DEP_4)
	v_cndmask_b32_e32 v8, v14, v12, vcc_lo
	v_cndmask_b32_e32 v10, v13, v11, vcc_lo
	v_cmp_ne_u32_e32 vcc_lo, 0, v7
	s_delay_alu instid0(VALU_DEP_2)
	v_dual_cndmask_b32 v7, v2, v10 :: v_dual_cndmask_b32 v8, v9, v8
.LBB0_4:                                ;   in Loop: Header=BB0_2 Depth=1
	s_and_not1_saveexec_b32 s2, s3
	s_cbranch_execz .LBB0_6
; %bb.5:                                ;   in Loop: Header=BB0_2 Depth=1
	v_cvt_f32_u32_e32 v2, s18
	s_sub_i32 s3, 0, s18
	s_delay_alu instid0(VALU_DEP_1) | instskip(SKIP_2) | instid1(VALU_DEP_1)
	v_rcp_iflag_f32_e32 v2, v2
	s_waitcnt_depctr 0xfff
	v_mul_f32_e32 v2, 0x4f7ffffe, v2
	v_cvt_u32_f32_e32 v2, v2
	s_delay_alu instid0(VALU_DEP_1) | instskip(NEXT) | instid1(VALU_DEP_1)
	v_mul_lo_u32 v7, s3, v2
	v_mul_hi_u32 v7, v2, v7
	s_delay_alu instid0(VALU_DEP_1) | instskip(NEXT) | instid1(VALU_DEP_1)
	v_add_nc_u32_e32 v2, v2, v7
	v_mul_hi_u32 v2, v5, v2
	s_delay_alu instid0(VALU_DEP_1) | instskip(SKIP_1) | instid1(VALU_DEP_2)
	v_mul_lo_u32 v7, v2, s18
	v_add_nc_u32_e32 v8, 1, v2
	v_sub_nc_u32_e32 v7, v5, v7
	s_delay_alu instid0(VALU_DEP_1) | instskip(SKIP_1) | instid1(VALU_DEP_2)
	v_subrev_nc_u32_e32 v9, s18, v7
	v_cmp_le_u32_e32 vcc_lo, s18, v7
	v_dual_cndmask_b32 v7, v7, v9 :: v_dual_cndmask_b32 v2, v2, v8
	s_delay_alu instid0(VALU_DEP_1) | instskip(NEXT) | instid1(VALU_DEP_2)
	v_cmp_le_u32_e32 vcc_lo, s18, v7
	v_add_nc_u32_e32 v8, 1, v2
	s_delay_alu instid0(VALU_DEP_1)
	v_dual_cndmask_b32 v7, v2, v8 :: v_dual_mov_b32 v8, v1
.LBB0_6:                                ;   in Loop: Header=BB0_2 Depth=1
	s_or_b32 exec_lo, exec_lo, s2
	s_load_b64 s[2:3], s[12:13], 0x0
	s_delay_alu instid0(VALU_DEP_1) | instskip(NEXT) | instid1(VALU_DEP_2)
	v_mul_lo_u32 v2, v8, s18
	v_mul_lo_u32 v11, v7, s19
	v_mad_u64_u32 v[9:10], null, v7, s18, 0
	s_add_u32 s16, s16, 1
	s_addc_u32 s17, s17, 0
	s_add_u32 s12, s12, 8
	s_addc_u32 s13, s13, 0
	;; [unrolled: 2-line block ×3, first 2 shown]
	s_delay_alu instid0(VALU_DEP_1) | instskip(SKIP_1) | instid1(VALU_DEP_2)
	v_add3_u32 v2, v10, v11, v2
	v_sub_co_u32 v9, vcc_lo, v5, v9
	v_sub_co_ci_u32_e32 v2, vcc_lo, v6, v2, vcc_lo
	s_waitcnt lgkmcnt(0)
	s_delay_alu instid0(VALU_DEP_2) | instskip(NEXT) | instid1(VALU_DEP_2)
	v_mul_lo_u32 v10, s3, v9
	v_mul_lo_u32 v2, s2, v2
	v_mad_u64_u32 v[5:6], null, s2, v9, v[3:4]
	v_cmp_ge_u64_e64 s2, s[16:17], s[6:7]
	s_delay_alu instid0(VALU_DEP_1) | instskip(NEXT) | instid1(VALU_DEP_2)
	s_and_b32 vcc_lo, exec_lo, s2
	v_add3_u32 v4, v10, v6, v2
	s_delay_alu instid0(VALU_DEP_3)
	v_mov_b32_e32 v3, v5
	s_cbranch_vccnz .LBB0_9
; %bb.7:                                ;   in Loop: Header=BB0_2 Depth=1
	v_dual_mov_b32 v5, v7 :: v_dual_mov_b32 v6, v8
	s_branch .LBB0_2
.LBB0_8:
	v_dual_mov_b32 v8, v6 :: v_dual_mov_b32 v7, v5
.LBB0_9:
	s_lshl_b64 s[2:3], s[6:7], 3
	v_mul_hi_u32 v1, 0x4ec4ec5, v0
	s_add_u32 s2, s10, s2
	s_addc_u32 s3, s11, s3
	s_load_b64 s[0:1], s[0:1], 0x20
	s_load_b64 s[2:3], s[2:3], 0x0
	s_delay_alu instid0(VALU_DEP_1) | instskip(NEXT) | instid1(VALU_DEP_1)
	v_mul_u32_u24_e32 v1, 52, v1
	v_sub_nc_u32_e32 v116, v0, v1
	s_delay_alu instid0(VALU_DEP_1)
	v_add_nc_u32_e32 v108, 52, v116
	v_add_nc_u32_e32 v97, 0x68, v116
	;; [unrolled: 1-line block ×5, first 2 shown]
	s_waitcnt lgkmcnt(0)
	v_cmp_gt_u64_e32 vcc_lo, s[0:1], v[7:8]
	v_mul_lo_u32 v2, s2, v8
	v_mul_lo_u32 v5, s3, v7
	v_mad_u64_u32 v[0:1], null, s2, v7, v[3:4]
	v_cmp_le_u64_e64 s0, s[0:1], v[7:8]
	v_add_nc_u32_e32 v107, 0x138, v116
	v_add_nc_u32_e32 v124, 0x16c, v116
	;; [unrolled: 1-line block ×5, first 2 shown]
	v_add3_u32 v1, v5, v1, v2
	v_add_nc_u32_e32 v139, 0x23c, v116
	s_and_saveexec_b32 s1, s0
	s_delay_alu instid0(SALU_CYCLE_1)
	s_xor_b32 s0, exec_lo, s1
; %bb.10:
	v_add_nc_u32_e32 v108, 52, v116
	v_add_nc_u32_e32 v97, 0x68, v116
	;; [unrolled: 1-line block ×11, first 2 shown]
; %bb.11:
	s_or_saveexec_b32 s1, s0
	v_lshlrev_b64 v[0:1], 4, v[0:1]
	scratch_store_b64 off, v[0:1], off offset:16 ; 8-byte Folded Spill
	v_or_b32_e32 v0, 0x340, v116
	scratch_store_b64 off, v[0:1], off      ; 8-byte Folded Spill
	s_xor_b32 exec_lo, exec_lo, s1
	s_cbranch_execz .LBB0_13
; %bb.12:
	scratch_load_b64 v[2:3], off, off offset:16 ; 8-byte Folded Reload
	v_lshl_add_u32 v96, v116, 4, 0
	s_waitcnt vmcnt(0)
	v_add_co_u32 v20, s0, s8, v2
	s_delay_alu instid0(VALU_DEP_1) | instskip(SKIP_2) | instid1(VALU_DEP_1)
	v_add_co_ci_u32_e64 v21, s0, s9, v3, s0
	scratch_load_b64 v[2:3], off, off       ; 8-byte Folded Reload
	v_mov_b32_e32 v117, 0
	v_lshlrev_b64 v[0:1], 4, v[116:117]
	s_delay_alu instid0(VALU_DEP_1) | instskip(NEXT) | instid1(VALU_DEP_1)
	v_add_co_u32 v16, s0, v20, v0
	v_add_co_ci_u32_e64 v17, s0, v21, v1, s0
	s_delay_alu instid0(VALU_DEP_2) | instskip(NEXT) | instid1(VALU_DEP_1)
	v_add_co_u32 v36, s0, 0x1000, v16
	v_add_co_ci_u32_e64 v37, s0, 0, v17, s0
	v_add_co_u32 v56, s0, 0x2000, v16
	s_delay_alu instid0(VALU_DEP_1) | instskip(SKIP_1) | instid1(VALU_DEP_1)
	v_add_co_ci_u32_e64 v57, s0, 0, v17, s0
	v_add_co_u32 v76, s0, 0x3000, v16
	v_add_co_ci_u32_e64 v77, s0, 0, v17, s0
	s_waitcnt vmcnt(0)
	v_dual_mov_b32 v0, v2 :: v_dual_mov_b32 v3, v117
	scratch_store_b64 off, v[0:1], off      ; 8-byte Folded Spill
	v_lshlrev_b64 v[18:19], 4, v[2:3]
	s_clause 0x3
	global_load_b128 v[0:3], v[16:17], off
	global_load_b128 v[4:7], v[16:17], off offset:832
	global_load_b128 v[8:11], v[16:17], off offset:1664
	;; [unrolled: 1-line block ×3, first 2 shown]
	v_add_co_u32 v64, s0, v20, v18
	s_delay_alu instid0(VALU_DEP_1) | instskip(SKIP_1) | instid1(VALU_DEP_1)
	v_add_co_ci_u32_e64 v65, s0, v21, v19, s0
	v_add_co_u32 v92, s0, 0x4000, v16
	v_add_co_ci_u32_e64 v93, s0, 0, v17, s0
	s_clause 0x13
	global_load_b128 v[16:19], v[16:17], off offset:3328
	global_load_b128 v[20:23], v[36:37], off offset:64
	;; [unrolled: 1-line block ×12, first 2 shown]
	global_load_b128 v[64:67], v[64:65], off
	global_load_b128 v[68:71], v[76:77], off offset:1856
	global_load_b128 v[72:75], v[76:77], off offset:2688
	;; [unrolled: 1-line block ×7, first 2 shown]
	s_waitcnt vmcnt(23)
	ds_store_b128 v96, v[0:3]
	s_waitcnt vmcnt(22)
	ds_store_b128 v96, v[4:7] offset:832
	s_waitcnt vmcnt(21)
	ds_store_b128 v96, v[8:11] offset:1664
	;; [unrolled: 2-line block ×23, first 2 shown]
.LBB0_13:
	s_or_b32 exec_lo, exec_lo, s1
	v_dual_mov_b32 v110, v108 :: v_dual_lshlrev_b32 v101, 4, v116
	v_mov_b32_e32 v111, v97
	s_waitcnt lgkmcnt(0)
	s_waitcnt_vscnt null, 0x0
	s_barrier
	v_add_nc_u32_e32 v243, 0, v101
	buffer_gl0_inv
	v_lshl_add_u32 v96, v108, 5, 0
	v_lshl_add_u32 v248, v108, 4, 0
	v_lshlrev_b32_e32 v146, 1, v108
	v_mov_b32_e32 v108, v111
	ds_load_b128 v[0:3], v243
	ds_load_b128 v[4:7], v243 offset:832
	ds_load_b128 v[8:11], v243 offset:9984
	;; [unrolled: 1-line block ×23, first 2 shown]
	s_waitcnt lgkmcnt(21)
	v_add_f64 v[8:9], v[0:1], -v[8:9]
	v_add_f64 v[10:11], v[2:3], -v[10:11]
	s_waitcnt lgkmcnt(20)
	v_add_f64 v[12:13], v[4:5], -v[12:13]
	v_add_f64 v[14:15], v[6:7], -v[14:15]
	;; [unrolled: 3-line block ×7, first 2 shown]
	s_waitcnt lgkmcnt(8)
	v_add_f64 v[60:61], v[52:53], -v[60:61]
	s_waitcnt lgkmcnt(4)
	v_add_f64 v[76:77], v[68:69], -v[76:77]
	v_add_f64 v[78:79], v[70:71], -v[78:79]
	;; [unrolled: 1-line block ×3, first 2 shown]
	s_waitcnt lgkmcnt(1)
	v_add_f64 v[88:89], v[80:81], -v[88:89]
	s_waitcnt lgkmcnt(0)
	v_add_f64 v[92:93], v[84:85], -v[92:93]
	v_add_f64 v[94:95], v[86:87], -v[94:95]
	;; [unrolled: 1-line block ×5, first 2 shown]
	scratch_store_b32 off, v101, off offset:24 ; 4-byte Folded Spill
	v_add_nc_u32_e32 v101, v243, v101
	v_lshl_add_u32 v97, v111, 5, 0
	v_lshl_add_u32 v98, v112, 5, 0
	;; [unrolled: 1-line block ×7, first 2 shown]
	s_waitcnt_vscnt null, 0x0
	s_barrier
	buffer_gl0_inv
	v_lshl_add_u32 v143, v137, 5, 0
	v_lshl_add_u32 v145, v139, 5, 0
	v_fma_f64 v[0:1], v[0:1], 2.0, -v[8:9]
	v_fma_f64 v[2:3], v[2:3], 2.0, -v[10:11]
	;; [unrolled: 1-line block ×24, first 2 shown]
	v_lshl_add_u32 v144, v138, 5, 0
	v_lshlrev_b32_e32 v141, 1, v116
	v_lshlrev_b32_e32 v119, 4, v107
	;; [unrolled: 1-line block ×4, first 2 shown]
	v_lshl_add_u32 v255, v112, 4, 0
	v_lshlrev_b32_e32 v120, 4, v124
	v_lshl_add_u32 v140, v113, 4, 0
	v_lshl_add_u32 v136, v114, 4, 0
	v_lshlrev_b32_e32 v121, 1, v112
	v_lshlrev_b32_e32 v122, 1, v113
	;; [unrolled: 1-line block ×4, first 2 shown]
	ds_store_b128 v101, v[0:3]
	ds_store_b128 v101, v[8:11] offset:16
	ds_store_b128 v96, v[4:7]
	ds_store_b128 v96, v[12:15] offset:16
	;; [unrolled: 2-line block ×9, first 2 shown]
	v_and_b32_e32 v24, 1, v116
	v_lshl_add_u32 v129, v111, 4, 0
	v_lshlrev_b32_e32 v148, 4, v137
	v_lshlrev_b32_e32 v149, 4, v138
	;; [unrolled: 1-line block ×5, first 2 shown]
	ds_store_b128 v143, v[68:71]
	ds_store_b128 v143, v[76:79] offset:16
	ds_store_b128 v144, v[80:83]
	ds_store_b128 v144, v[88:91] offset:16
	;; [unrolled: 2-line block ×3, first 2 shown]
	s_waitcnt lgkmcnt(0)
	s_barrier
	buffer_gl0_inv
	global_load_b128 v[0:3], v0, s[4:5]
	ds_load_b128 v[4:7], v243 offset:9984
	ds_load_b128 v[8:11], v243 offset:10816
	;; [unrolled: 1-line block ×9, first 2 shown]
	ds_load_b128 v[41:44], v243
	ds_load_b128 v[45:48], v243 offset:17472
	ds_load_b128 v[49:52], v243 offset:18304
	;; [unrolled: 1-line block ×3, first 2 shown]
	ds_load_b128 v[57:60], v248
	scratch_store_b64 off, v[108:109], off offset:80 ; 8-byte Folded Spill
	v_mov_b32_e32 v108, v112
	v_cmp_gt_u32_e64 s0, 44, v116
	scratch_store_b64 off, v[108:109], off offset:88 ; 8-byte Folded Spill
	v_dual_mov_b32 v108, v113 :: v_dual_lshlrev_b32 v115, 1, v111
	scratch_store_b64 off, v[108:109], off offset:96 ; 8-byte Folded Spill
	v_mov_b32_e32 v108, v114
	v_sub_nc_u32_e32 v134, v117, v119
	scratch_store_b64 off, v[108:109], off offset:104 ; 8-byte Folded Spill
	v_dual_mov_b32 v108, v107 :: v_dual_mov_b32 v107, v109
	s_clause 0x5
	scratch_store_b64 off, v[110:111], off offset:8
	scratch_store_b64 off, v[108:109], off offset:32
	;; [unrolled: 1-line block ×3, first 2 shown]
	scratch_store_b32 off, v117, off offset:120
	scratch_store_b32 off, v119, off offset:148
	;; [unrolled: 1-line block ×3, first 2 shown]
	s_waitcnt vmcnt(0) lgkmcnt(13)
	v_mul_f64 v[61:62], v[6:7], v[2:3]
	v_mul_f64 v[63:64], v[4:5], v[2:3]
	s_waitcnt lgkmcnt(12)
	v_mul_f64 v[65:66], v[10:11], v[2:3]
	v_mul_f64 v[67:68], v[8:9], v[2:3]
	s_waitcnt lgkmcnt(11)
	;; [unrolled: 3-line block ×11, first 2 shown]
	v_mul_f64 v[105:106], v[55:56], v[2:3]
	v_mul_f64 v[2:3], v[53:54], v[2:3]
	v_fma_f64 v[4:5], v[4:5], v[0:1], -v[61:62]
	v_fma_f64 v[6:7], v[6:7], v[0:1], v[63:64]
	v_fma_f64 v[8:9], v[8:9], v[0:1], -v[65:66]
	v_fma_f64 v[10:11], v[10:11], v[0:1], v[67:68]
	;; [unrolled: 2-line block ×7, first 2 shown]
	ds_load_b128 v[25:28], v129
	ds_load_b128 v[29:32], v255
	v_fma_f64 v[125:126], v[37:38], v[0:1], -v[93:94]
	v_fma_f64 v[127:128], v[39:40], v[0:1], v[95:96]
	v_fma_f64 v[97:98], v[45:46], v[0:1], -v[97:98]
	v_fma_f64 v[99:100], v[47:48], v[0:1], v[99:100]
	v_fma_f64 v[101:102], v[49:50], v[0:1], -v[101:102]
	v_fma_f64 v[103:104], v[51:52], v[0:1], v[103:104]
	v_fma_f64 v[105:106], v[53:54], v[0:1], -v[105:106]
	v_fma_f64 v[129:130], v[55:56], v[0:1], v[2:3]
	v_mov_b32_e32 v53, v137
	v_sub_nc_u32_e32 v135, v118, v120
	v_fma_f64 v[117:118], v[33:34], v[0:1], -v[89:90]
	v_fma_f64 v[119:120], v[35:36], v[0:1], v[91:92]
	v_sub_nc_u32_e32 v0, v142, v147
	s_clause 0x1
	scratch_store_b32 off, v142, off offset:124
	scratch_store_b32 off, v147, off offset:152
	v_sub_nc_u32_e32 v1, v143, v148
	scratch_store_b32 off, v140, off offset:72 ; 4-byte Folded Spill
	ds_load_b128 v[33:36], v140
	s_clause 0x2
	scratch_store_b32 off, v143, off offset:128
	scratch_store_b32 off, v148, off offset:156
	;; [unrolled: 1-line block ×3, first 2 shown]
	ds_load_b128 v[37:40], v136
	v_sub_nc_u32_e32 v3, v145, v150
	v_add_f64 v[73:74], v[41:42], -v[4:5]
	v_mov_b32_e32 v4, v138
	v_sub_nc_u32_e32 v2, v144, v149
	s_clause 0x1
	scratch_store_b32 off, v144, off offset:132
	scratch_store_b32 off, v149, off offset:160
	ds_load_b128 v[45:48], v134
	s_clause 0x2
	scratch_store_b32 off, v145, off offset:136
	scratch_store_b32 off, v150, off offset:164
	scratch_store_b64 off, v[53:54], off offset:48
	ds_load_b128 v[49:52], v135
	ds_load_b128 v[53:56], v0
	;; [unrolled: 1-line block ×5, first 2 shown]
	v_add_f64 v[75:76], v[43:44], -v[6:7]
	s_waitcnt lgkmcnt(10)
	v_add_f64 v[77:78], v[57:58], -v[8:9]
	v_add_f64 v[79:80], v[59:60], -v[10:11]
	s_waitcnt lgkmcnt(9)
	v_add_f64 v[81:82], v[25:26], -v[12:13]
	v_add_f64 v[83:84], v[27:28], -v[14:15]
	s_waitcnt lgkmcnt(8)
	v_add_f64 v[85:86], v[29:30], -v[16:17]
	v_add_f64 v[87:88], v[31:32], -v[18:19]
	s_waitcnt lgkmcnt(7)
	v_add_f64 v[89:90], v[33:34], -v[20:21]
	v_add_f64 v[91:92], v[35:36], -v[22:23]
	s_waitcnt lgkmcnt(6)
	v_add_f64 v[93:94], v[37:38], -v[107:108]
	v_add_f64 v[95:96], v[39:40], -v[109:110]
	scratch_store_b64 off, v[4:5], off offset:56 ; 8-byte Folded Spill
	v_dual_mov_b32 v5, v139 :: v_dual_lshlrev_b32 v134, 1, v137
	v_lshlrev_b32_e32 v4, 1, v138
	s_waitcnt lgkmcnt(5)
	v_add_f64 v[0:1], v[45:46], -v[111:112]
	v_add_f64 v[2:3], v[47:48], -v[113:114]
	s_waitcnt lgkmcnt(3)
	v_add_f64 v[8:9], v[53:54], -v[125:126]
	v_add_f64 v[149:150], v[49:50], -v[117:118]
	;; [unrolled: 1-line block ×4, first 2 shown]
	s_waitcnt lgkmcnt(2)
	v_add_f64 v[12:13], v[61:62], -v[97:98]
	v_add_f64 v[14:15], v[63:64], -v[99:100]
	s_waitcnt lgkmcnt(1)
	v_add_f64 v[16:17], v[65:66], -v[101:102]
	v_add_f64 v[18:19], v[67:68], -v[103:104]
	;; [unrolled: 3-line block ×3, first 2 shown]
	scratch_store_b64 off, v[5:6], off offset:64 ; 8-byte Folded Spill
	v_mov_b32_e32 v6, v141
	v_fma_f64 v[97:98], v[41:42], 2.0, -v[73:74]
	v_lshlrev_b32_e32 v5, 1, v139
	v_and_or_b32 v114, 0x1fc, v121, v24
	v_and_or_b32 v119, 0x3fc, v132, v24
	scratch_store_b64 off, v[6:7], off offset:112 ; 8-byte Folded Spill
	v_mov_b32_e32 v7, v146
	v_and_or_b32 v6, 0x7c, v141, v24
	v_and_or_b32 v120, 0x3fc, v133, v24
	;; [unrolled: 1-line block ×3, first 2 shown]
	v_fma_f64 v[99:100], v[43:44], 2.0, -v[75:76]
	v_fma_f64 v[57:58], v[57:58], 2.0, -v[77:78]
	;; [unrolled: 1-line block ×9, first 2 shown]
	v_and_or_b32 v4, 0x4fc, v4, v24
	v_fma_f64 v[147:148], v[39:40], 2.0, -v[95:96]
	v_and_or_b32 v5, 0x4fc, v5, v24
	v_and_or_b32 v113, 0x1fc, v115, v24
	;; [unrolled: 1-line block ×4, first 2 shown]
	v_fma_f64 v[44:45], v[45:46], 2.0, -v[0:1]
	v_fma_f64 v[46:47], v[47:48], 2.0, -v[2:3]
	scratch_store_b64 off, v[7:8], off offset:140 ; 8-byte Folded Spill
	v_and_or_b32 v7, 0xfc, v146, v24
	v_fma_f64 v[145:146], v[37:38], 2.0, -v[93:94]
	v_fma_f64 v[36:37], v[49:50], 2.0, -v[149:150]
	;; [unrolled: 1-line block ×11, first 2 shown]
	v_and_or_b32 v118, 0x2fc, v131, v24
	v_lshl_add_u32 v6, v6, 4, 0
	v_lshl_add_u32 v29, v119, 4, 0
	v_lshl_add_u32 v30, v120, 4, 0
	v_lshl_add_u32 v31, v121, 4, 0
	v_lshl_add_u32 v4, v4, 4, 0
	v_lshl_add_u32 v5, v5, 4, 0
	v_lshl_add_u32 v7, v7, 4, 0
	v_lshl_add_u32 v24, v113, 4, 0
	v_lshl_add_u32 v25, v114, 4, 0
	v_lshl_add_u32 v26, v115, 4, 0
	v_lshl_add_u32 v27, v117, 4, 0
	v_lshl_add_u32 v28, v118, 4, 0
	s_waitcnt_vscnt null, 0x0
	s_barrier
	buffer_gl0_inv
	ds_store_b128 v6, v[97:100]
	ds_store_b128 v6, v[73:76] offset:32
	ds_store_b128 v7, v[57:60]
	ds_store_b128 v7, v[77:80] offset:32
	;; [unrolled: 2-line block ×7, first 2 shown]
	scratch_store_b128 off, v[149:152], off offset:168 ; 16-byte Folded Spill
	ds_store_b128 v29, v[149:152] offset:32
	scratch_store_b128 off, v[36:39], off offset:200 ; 16-byte Folded Spill
	ds_store_b128 v29, v[36:39]
	scratch_store_b128 off, v[32:35], off offset:184 ; 16-byte Folded Spill
	ds_store_b128 v30, v[32:35]
	ds_store_b128 v30, v[8:11] offset:32
	scratch_store_b128 off, v[40:43], off offset:216 ; 16-byte Folded Spill
	ds_store_b128 v31, v[40:43]
	ds_store_b128 v31, v[12:15] offset:32
	;; [unrolled: 3-line block ×4, first 2 shown]
	s_waitcnt lgkmcnt(0)
	s_waitcnt_vscnt null, 0x0
	s_barrier
	buffer_gl0_inv
	ds_load_b128 v[100:103], v243
	ds_load_b128 v[56:59], v243 offset:1536
	ds_load_b128 v[68:71], v243 offset:3072
	;; [unrolled: 1-line block ×12, first 2 shown]
                                        ; implicit-def: $vgpr4_vgpr5
	s_clause 0x1
	scratch_store_b128 off, v[2:5], off offset:280
	; meta instruction
	scratch_store_b128 off, v[2:5], off offset:264
	s_and_saveexec_b32 s1, s0
	s_cbranch_execz .LBB0_15
; %bb.14:
	ds_load_b128 v[0:3], v248
	ds_load_b128 v[4:7], v243 offset:2368
	s_waitcnt lgkmcnt(0)
	scratch_store_b128 off, v[4:7], off offset:200 ; 16-byte Folded Spill
	ds_load_b128 v[4:7], v243 offset:3904
	s_waitcnt lgkmcnt(0)
	scratch_store_b128 off, v[4:7], off offset:168 ; 16-byte Folded Spill
	;; [unrolled: 3-line block ×3, first 2 shown]
	ds_load_b128 v[8:11], v243 offset:6976
	ds_load_b128 v[4:7], v243 offset:8512
	s_waitcnt lgkmcnt(0)
	scratch_store_b128 off, v[4:7], off offset:216 ; 16-byte Folded Spill
	ds_load_b128 v[12:15], v243 offset:10048
	ds_load_b128 v[4:7], v243 offset:11584
	s_waitcnt lgkmcnt(0)
	scratch_store_b128 off, v[4:7], off offset:232 ; 16-byte Folded Spill
	;; [unrolled: 4-line block ×4, first 2 shown]
	ds_load_b128 v[4:7], v243 offset:19264
	s_waitcnt lgkmcnt(0)
	scratch_store_b128 off, v[4:7], off offset:280 ; 16-byte Folded Spill
.LBB0_15:
	s_or_b32 exec_lo, exec_lo, s1
	v_and_b32_e32 v117, 3, v116
	s_mov_b32 s26, 0x4267c47c
	s_mov_b32 s24, 0x42a4c3d2
	;; [unrolled: 1-line block ×4, first 2 shown]
	v_mul_u32_u24_e32 v4, 12, v117
	s_mov_b32 s18, 0x24c2f84
	s_mov_b32 s16, 0x4bc48dbf
	s_mov_b32 s27, 0xbfddbe06
	s_mov_b32 s25, 0xbfea55e2
	v_lshlrev_b32_e32 v4, 4, v4
	s_mov_b32 s23, 0xbfefc445
	s_mov_b32 s21, 0xbfedeba7
	;; [unrolled: 1-line block ×4, first 2 shown]
	s_clause 0x1
	global_load_b128 v[52:55], v4, s[4:5] offset:32
	global_load_b128 v[60:63], v4, s[4:5] offset:48
	s_mov_b32 s28, 0xe00740e9
	s_mov_b32 s14, 0x1ea71119
	;; [unrolled: 1-line block ×24, first 2 shown]
	s_waitcnt vmcnt(1) lgkmcnt(11)
	v_mul_f64 v[64:65], v[56:57], v[54:55]
	s_delay_alu instid0(VALU_DEP_1) | instskip(SKIP_1) | instid1(VALU_DEP_1)
	v_fma_f64 v[118:119], v[58:59], v[52:53], v[64:65]
	v_mul_f64 v[58:59], v[58:59], v[54:55]
	v_fma_f64 v[120:121], v[56:57], v[52:53], -v[58:59]
	s_clause 0x1
	global_load_b128 v[56:59], v4, s[4:5] offset:208
	global_load_b128 v[64:67], v4, s[4:5] offset:192
	s_waitcnt vmcnt(1) lgkmcnt(0)
	v_mul_f64 v[125:126], v[72:73], v[58:59]
	s_delay_alu instid0(VALU_DEP_1) | instskip(SKIP_1) | instid1(VALU_DEP_2)
	v_fma_f64 v[24:25], v[74:75], v[56:57], v[125:126]
	v_mul_f64 v[74:75], v[74:75], v[58:59]
	v_add_f64 v[205:206], v[118:119], v[24:25]
	s_delay_alu instid0(VALU_DEP_2) | instskip(SKIP_1) | instid1(VALU_DEP_2)
	v_fma_f64 v[26:27], v[72:73], v[56:57], -v[74:75]
	v_mul_f64 v[72:73], v[70:71], v[62:63]
	v_add_f64 v[181:182], v[120:121], v[26:27]
	s_delay_alu instid0(VALU_DEP_2) | instskip(SKIP_1) | instid1(VALU_DEP_1)
	v_fma_f64 v[28:29], v[68:69], v[60:61], -v[72:73]
	v_mul_f64 v[68:69], v[68:69], v[62:63]
	v_fma_f64 v[30:31], v[70:71], v[60:61], v[68:69]
	s_clause 0x1
	global_load_b128 v[68:71], v4, s[4:5] offset:64
	global_load_b128 v[72:75], v4, s[4:5] offset:80
	s_waitcnt vmcnt(1)
	v_mul_f64 v[125:126], v[94:95], v[70:71]
	s_delay_alu instid0(VALU_DEP_1) | instskip(SKIP_1) | instid1(VALU_DEP_1)
	v_fma_f64 v[32:33], v[92:93], v[68:69], -v[125:126]
	v_mul_f64 v[92:93], v[92:93], v[70:71]
	v_fma_f64 v[34:35], v[94:95], v[68:69], v[92:93]
	s_waitcnt vmcnt(0)
	v_mul_f64 v[92:93], v[78:79], v[74:75]
	s_delay_alu instid0(VALU_DEP_1) | instskip(SKIP_1) | instid1(VALU_DEP_1)
	v_fma_f64 v[36:37], v[76:77], v[72:73], -v[92:93]
	v_mul_f64 v[76:77], v[76:77], v[74:75]
	v_fma_f64 v[38:39], v[78:79], v[72:73], v[76:77]
	s_clause 0x1
	global_load_b128 v[76:79], v4, s[4:5] offset:96
	global_load_b128 v[92:95], v4, s[4:5] offset:112
	s_waitcnt vmcnt(1)
	v_mul_f64 v[125:126], v[98:99], v[78:79]
	s_delay_alu instid0(VALU_DEP_1) | instskip(SKIP_1) | instid1(VALU_DEP_1)
	v_fma_f64 v[40:41], v[96:97], v[76:77], -v[125:126]
	v_mul_f64 v[96:97], v[96:97], v[78:79]
	v_fma_f64 v[42:43], v[98:99], v[76:77], v[96:97]
	s_waitcnt vmcnt(0)
	v_mul_f64 v[96:97], v[86:87], v[94:95]
	s_delay_alu instid0(VALU_DEP_1) | instskip(SKIP_1) | instid1(VALU_DEP_1)
	v_fma_f64 v[141:142], v[84:85], v[92:93], -v[96:97]
	v_mul_f64 v[84:85], v[84:85], v[94:95]
	v_fma_f64 v[143:144], v[86:87], v[92:93], v[84:85]
	s_clause 0x1
	global_load_b128 v[96:99], v4, s[4:5] offset:128
	global_load_b128 v[84:87], v4, s[4:5] offset:144
	s_waitcnt vmcnt(1)
	v_mul_f64 v[125:126], v[90:91], v[98:99]
	s_delay_alu instid0(VALU_DEP_1) | instskip(SKIP_1) | instid1(VALU_DEP_1)
	v_fma_f64 v[151:152], v[88:89], v[96:97], -v[125:126]
	v_mul_f64 v[88:89], v[88:89], v[98:99]
	v_fma_f64 v[149:150], v[90:91], v[96:97], v[88:89]
	s_waitcnt vmcnt(0)
	v_mul_f64 v[88:89], v[82:83], v[86:87]
	s_delay_alu instid0(VALU_DEP_1) | instskip(SKIP_1) | instid1(VALU_DEP_2)
	v_fma_f64 v[153:154], v[80:81], v[84:85], -v[88:89]
	v_mul_f64 v[80:81], v[80:81], v[86:87]
	v_add_f64 v[235:236], v[40:41], v[153:154]
	s_delay_alu instid0(VALU_DEP_2)
	v_fma_f64 v[139:140], v[82:83], v[84:85], v[80:81]
	s_clause 0x1
	global_load_b128 v[88:91], v4, s[4:5] offset:160
	global_load_b128 v[80:83], v4, s[4:5] offset:176
	v_add_f64 v[4:5], v[100:101], v[120:121]
	s_clause 0x1
	scratch_store_b64 off, v[24:25], off offset:304
	scratch_store_b64 off, v[26:27], off offset:296
	s_waitcnt vmcnt(1)
	v_mul_f64 v[125:126], v[114:115], v[90:91]
	s_delay_alu instid0(VALU_DEP_1) | instskip(SKIP_1) | instid1(VALU_DEP_1)
	v_fma_f64 v[46:47], v[112:113], v[88:89], -v[125:126]
	v_mul_f64 v[112:113], v[112:113], v[90:91]
	v_fma_f64 v[147:148], v[114:115], v[88:89], v[112:113]
	s_waitcnt vmcnt(0)
	v_mul_f64 v[114:115], v[110:111], v[82:83]
	s_delay_alu instid0(VALU_DEP_1) | instskip(SKIP_1) | instid1(VALU_DEP_2)
	v_fma_f64 v[6:7], v[108:109], v[80:81], -v[114:115]
	v_mul_f64 v[108:109], v[108:109], v[82:83]
	v_add_f64 v[137:138], v[32:33], -v[6:7]
	s_delay_alu instid0(VALU_DEP_2) | instskip(SKIP_1) | instid1(VALU_DEP_3)
	v_fma_f64 v[145:146], v[110:111], v[80:81], v[108:109]
	v_mul_f64 v[110:111], v[106:107], v[66:67]
	v_mul_f64 v[171:172], v[137:138], s[42:43]
	s_delay_alu instid0(VALU_DEP_3) | instskip(NEXT) | instid1(VALU_DEP_3)
	v_add_f64 v[135:136], v[34:35], -v[145:146]
	v_fma_f64 v[122:123], v[104:105], v[64:65], -v[110:111]
	v_mul_f64 v[104:105], v[104:105], v[66:67]
	s_delay_alu instid0(VALU_DEP_2) | instskip(NEXT) | instid1(VALU_DEP_2)
	v_add_f64 v[233:234], v[28:29], -v[122:123]
	v_fma_f64 v[44:45], v[106:107], v[64:65], v[104:105]
	v_add_f64 v[104:105], v[118:119], -v[24:25]
	s_delay_alu instid0(VALU_DEP_3) | instskip(NEXT) | instid1(VALU_DEP_2)
	v_mul_f64 v[169:170], v[233:234], s[30:31]
	v_mul_f64 v[106:107], v[104:105], s[26:27]
	;; [unrolled: 1-line block ×7, first 2 shown]
	v_fma_f64 v[185:186], v[181:182], s[28:29], -v[106:107]
	v_fma_f64 v[106:107], v[181:182], s[28:29], v[106:107]
	v_fma_f64 v[189:190], v[181:182], s[14:15], -v[125:126]
	v_fma_f64 v[125:126], v[181:182], s[14:15], v[125:126]
	;; [unrolled: 2-line block ×6, first 2 shown]
	v_add_f64 v[181:182], v[120:121], -v[26:27]
	v_dual_mov_b32 v26, v139 :: v_dual_mov_b32 v27, v140
	s_delay_alu instid0(VALU_DEP_1)
	v_add_f64 v[139:140], v[42:43], -v[26:27]
	v_add_f64 v[239:240], v[42:43], v[26:27]
	v_add_f64 v[125:126], v[100:101], v[125:126]
	;; [unrolled: 1-line block ×3, first 2 shown]
	v_mul_f64 v[199:200], v[233:234], s[24:25]
	v_mul_f64 v[193:194], v[181:182], s[22:23]
	;; [unrolled: 1-line block ×10, first 2 shown]
	v_fma_f64 v[217:218], v[205:206], s[12:13], -v[193:194]
	v_fma_f64 v[207:208], v[205:206], s[28:29], v[183:184]
	v_fma_f64 v[209:210], v[205:206], s[28:29], -v[183:184]
	v_fma_f64 v[211:212], v[205:206], s[14:15], v[187:188]
	;; [unrolled: 2-line block ×3, first 2 shown]
	v_fma_f64 v[219:220], v[205:206], s[10:11], v[201:202]
	v_fma_f64 v[201:202], v[205:206], s[10:11], -v[201:202]
	v_fma_f64 v[221:222], v[205:206], s[6:7], v[203:204]
	v_fma_f64 v[223:224], v[205:206], s[6:7], -v[203:204]
	;; [unrolled: 2-line block ×3, first 2 shown]
	v_add_f64 v[187:188], v[100:101], v[127:128]
	v_add_f64 v[127:128], v[100:101], v[195:196]
	;; [unrolled: 1-line block ×5, first 2 shown]
	v_dual_mov_b32 v196, v150 :: v_dual_mov_b32 v195, v149
	v_dual_mov_b32 v184, v142 :: v_dual_mov_b32 v183, v141
	;; [unrolled: 1-line block ×3, first 2 shown]
	v_fma_f64 v[179:180], v[235:236], s[2:3], -v[177:178]
	s_delay_alu instid0(VALU_DEP_2)
	v_add_f64 v[151:152], v[183:184], v[193:194]
	v_add_f64 v[24:25], v[102:103], v[217:218]
	scratch_store_b64 off, v[4:5], off offset:312 ; 8-byte Folded Spill
	v_add_f64 v[4:5], v[102:103], v[118:119]
	v_add_f64 v[120:121], v[102:103], v[207:208]
	;; [unrolled: 1-line block ×3, first 2 shown]
	v_add_f64 v[131:132], v[30:31], -v[44:45]
	v_add_f64 v[118:119], v[100:101], v[185:186]
	v_add_f64 v[244:245], v[102:103], v[211:212]
	v_add_f64 v[246:247], v[102:103], v[213:214]
	v_add_f64 v[133:134], v[102:103], v[215:216]
	v_add_f64 v[211:212], v[100:101], v[104:105]
	v_add_f64 v[213:214], v[32:33], v[6:7]
	v_mul_f64 v[215:216], v[135:136], s[22:23]
	v_add_f64 v[249:250], v[102:103], v[219:220]
	v_add_f64 v[201:202], v[102:103], v[201:202]
	;; [unrolled: 1-line block ×6, first 2 shown]
	v_mul_f64 v[219:220], v[137:138], s[22:23]
	v_add_f64 v[225:226], v[38:39], v[147:148]
	scratch_store_b64 off, v[24:25], off offset:368 ; 8-byte Folded Spill
	v_mov_b32_e32 v24, v46
	scratch_store_b64 off, v[4:5], off offset:320 ; 8-byte Folded Spill
	v_add_f64 v[4:5], v[100:101], v[106:107]
	v_add_f64 v[106:107], v[100:101], v[189:190]
	v_mul_f64 v[185:186], v[131:132], s[24:25]
	v_dual_mov_b32 v25, v47 :: v_dual_mov_b32 v190, v144
	v_mov_b32_e32 v189, v143
	v_mul_f64 v[167:168], v[131:132], s[30:31]
	v_mul_f64 v[143:144], v[233:234], s[42:43]
	s_delay_alu instid0(VALU_DEP_4)
	v_add_f64 v[221:222], v[36:37], v[24:25]
	v_fma_f64 v[104:105], v[213:214], s[12:13], -v[215:216]
	v_add_f64 v[48:49], v[36:37], -v[24:25]
	v_add_f64 v[149:150], v[189:190], -v[195:196]
	scratch_store_b64 off, v[4:5], off offset:336 ; 8-byte Folded Spill
	v_add_f64 v[4:5], v[102:103], v[209:210]
	v_add_f64 v[209:210], v[102:103], v[227:228]
	v_fma_f64 v[102:103], v[197:198], s[14:15], v[199:200]
	v_mul_f64 v[227:228], v[48:49], s[20:21]
	v_mul_f64 v[110:111], v[149:150], s[16:17]
	;; [unrolled: 1-line block ×6, first 2 shown]
	scratch_store_b64 off, v[4:5], off offset:344 ; 8-byte Folded Spill
	v_add_f64 v[4:5], v[100:101], v[191:192]
	v_add_f64 v[191:192], v[28:29], v[122:123]
	s_clause 0x1
	scratch_store_b64 off, v[30:31], off offset:360
	scratch_store_b64 off, v[44:45], off offset:328
	v_add_f64 v[44:45], v[38:39], -v[147:148]
	s_clause 0x1
	scratch_store_b64 off, v[28:29], off offset:352
	scratch_store_b64 off, v[32:33], off offset:376
	v_add_f64 v[102:103], v[102:103], v[120:121]
	s_clause 0x1
	scratch_store_b64 off, v[34:35], off offset:384
	scratch_store_b64 off, v[24:25], off offset:392
	v_add_f64 v[24:25], v[40:41], -v[153:154]
	v_fma_f64 v[50:51], v[225:226], s[10:11], v[227:228]
	s_clause 0x5
	scratch_store_b64 off, v[38:39], off offset:408
	scratch_store_b64 off, v[26:27], off offset:424
	;; [unrolled: 1-line block ×6, first 2 shown]
	v_add_f64 v[153:154], v[189:190], v[195:196]
	v_mul_f64 v[120:121], v[135:136], s[16:17]
	v_mul_f64 v[26:27], v[149:150], s[18:19]
	;; [unrolled: 1-line block ×6, first 2 shown]
	v_fma_f64 v[100:101], v[191:192], s[14:15], -v[185:186]
	v_mul_f64 v[223:224], v[44:45], s[20:21]
	v_mul_f64 v[155:156], v[44:45], s[30:31]
	;; [unrolled: 1-line block ×6, first 2 shown]
	v_fma_f64 v[30:31], v[151:152], s[14:15], -v[28:29]
	v_fma_f64 v[34:35], v[191:192], s[12:13], -v[32:33]
	v_fma_f64 v[38:39], v[217:218], s[14:15], v[36:37]
	v_fma_f64 v[36:37], v[217:218], s[14:15], -v[36:37]
	v_fma_f64 v[28:29], v[151:152], s[14:15], v[28:29]
	v_add_f64 v[100:101], v[100:101], v[118:119]
	v_fma_f64 v[46:47], v[221:222], s[10:11], -v[223:224]
	v_fma_f64 v[42:43], v[221:222], s[2:3], -v[40:41]
	v_add_f64 v[34:35], v[34:35], v[129:130]
	v_mul_f64 v[129:130], v[233:234], s[34:35]
	v_add_f64 v[100:101], v[104:105], v[100:101]
	v_fma_f64 v[104:105], v[217:218], s[12:13], v[219:220]
	s_delay_alu instid0(VALU_DEP_2) | instskip(NEXT) | instid1(VALU_DEP_2)
	v_add_f64 v[46:47], v[46:47], v[100:101]
	v_add_f64 v[102:103], v[104:105], v[102:103]
	v_fma_f64 v[100:101], v[235:236], s[6:7], -v[237:238]
	s_delay_alu instid0(VALU_DEP_2) | instskip(NEXT) | instid1(VALU_DEP_2)
	v_add_f64 v[50:51], v[50:51], v[102:103]
	v_add_f64 v[46:47], v[100:101], v[46:47]
	v_fma_f64 v[100:101], v[239:240], s[6:7], v[241:242]
	s_delay_alu instid0(VALU_DEP_1) | instskip(SKIP_1) | instid1(VALU_DEP_1)
	v_add_f64 v[50:51], v[100:101], v[50:51]
	v_fma_f64 v[100:101], v[151:152], s[2:3], -v[110:111]
	v_add_f64 v[112:113], v[100:101], v[46:47]
	v_add_f64 v[46:47], v[183:184], -v[193:194]
	v_mul_f64 v[100:101], v[131:132], s[16:17]
	s_delay_alu instid0(VALU_DEP_2) | instskip(SKIP_1) | instid1(VALU_DEP_2)
	v_mul_f64 v[108:109], v[46:47], s[16:17]
	v_mul_f64 v[165:166], v[46:47], s[18:19]
	v_fma_f64 v[102:103], v[153:154], s[2:3], v[108:109]
	s_delay_alu instid0(VALU_DEP_1) | instskip(SKIP_1) | instid1(VALU_DEP_1)
	v_add_f64 v[114:115], v[102:103], v[50:51]
	v_mul_f64 v[50:51], v[131:132], s[20:21]
	v_fma_f64 v[104:105], v[191:192], s[10:11], -v[50:51]
	v_fma_f64 v[50:51], v[191:192], s[10:11], v[50:51]
	s_delay_alu instid0(VALU_DEP_2) | instskip(SKIP_1) | instid1(VALU_DEP_3)
	v_add_f64 v[104:105], v[104:105], v[106:107]
	v_mul_f64 v[106:107], v[233:234], s[20:21]
	v_add_f64 v[50:51], v[50:51], v[125:126]
	s_delay_alu instid0(VALU_DEP_2) | instskip(SKIP_1) | instid1(VALU_DEP_2)
	v_fma_f64 v[118:119], v[197:198], s[10:11], v[106:107]
	v_fma_f64 v[106:107], v[197:198], s[10:11], -v[106:107]
	v_add_f64 v[118:119], v[118:119], v[244:245]
	v_fma_f64 v[244:245], v[213:214], s[2:3], -v[120:121]
	s_delay_alu instid0(VALU_DEP_3) | instskip(NEXT) | instid1(VALU_DEP_2)
	v_add_f64 v[106:107], v[106:107], v[246:247]
	v_add_f64 v[104:105], v[244:245], v[104:105]
	v_mul_f64 v[244:245], v[137:138], s[16:17]
	s_delay_alu instid0(VALU_DEP_1) | instskip(NEXT) | instid1(VALU_DEP_1)
	v_fma_f64 v[251:252], v[217:218], s[2:3], v[244:245]
	v_add_f64 v[118:119], v[251:252], v[118:119]
	v_fma_f64 v[251:252], v[221:222], s[6:7], -v[155:156]
	s_delay_alu instid0(VALU_DEP_1) | instskip(SKIP_1) | instid1(VALU_DEP_1)
	v_add_f64 v[104:105], v[251:252], v[104:105]
	v_fma_f64 v[251:252], v[225:226], s[6:7], v[157:158]
	v_add_f64 v[118:119], v[251:252], v[118:119]
	v_fma_f64 v[251:252], v[235:236], s[12:13], -v[159:160]
	s_delay_alu instid0(VALU_DEP_1) | instskip(SKIP_1) | instid1(VALU_DEP_1)
	v_add_f64 v[104:105], v[251:252], v[104:105]
	;; [unrolled: 5-line block ×3, first 2 shown]
	v_mul_f64 v[104:105], v[46:47], s[42:43]
	v_fma_f64 v[253:254], v[153:154], s[28:29], v[104:105]
	s_delay_alu instid0(VALU_DEP_1) | instskip(SKIP_2) | instid1(VALU_DEP_2)
	v_add_f64 v[253:254], v[253:254], v[118:119]
	v_fma_f64 v[118:119], v[213:214], s[2:3], v[120:121]
	v_fma_f64 v[120:121], v[153:154], s[28:29], -v[104:105]
	v_add_f64 v[50:51], v[118:119], v[50:51]
	v_fma_f64 v[118:119], v[217:218], s[2:3], -v[244:245]
	s_delay_alu instid0(VALU_DEP_1) | instskip(SKIP_3) | instid1(VALU_DEP_3)
	v_add_f64 v[106:107], v[118:119], v[106:107]
	v_fma_f64 v[118:119], v[221:222], s[6:7], v[155:156]
	v_mul_f64 v[155:156], v[137:138], s[36:37]
	v_mul_f64 v[137:138], v[137:138], s[18:19]
	v_add_f64 v[50:51], v[118:119], v[50:51]
	v_fma_f64 v[118:119], v[225:226], s[6:7], -v[157:158]
	v_mul_f64 v[157:158], v[44:45], s[42:43]
	v_mul_f64 v[44:45], v[44:45], s[40:41]
	s_delay_alu instid0(VALU_DEP_3) | instskip(SKIP_2) | instid1(VALU_DEP_2)
	v_add_f64 v[106:107], v[118:119], v[106:107]
	v_fma_f64 v[118:119], v[235:236], s[12:13], v[159:160]
	v_mul_f64 v[159:160], v[48:49], s[42:43]
	v_add_f64 v[50:51], v[118:119], v[50:51]
	v_fma_f64 v[118:119], v[239:240], s[12:13], -v[161:162]
	v_mul_f64 v[161:162], v[139:140], s[24:25]
	s_delay_alu instid0(VALU_DEP_2) | instskip(SKIP_2) | instid1(VALU_DEP_3)
	v_add_f64 v[106:107], v[118:119], v[106:107]
	v_fma_f64 v[118:119], v[151:152], s[28:29], v[163:164]
	v_mul_f64 v[163:164], v[24:25], s[24:25]
	v_add_f64 v[106:107], v[120:121], v[106:107]
	s_delay_alu instid0(VALU_DEP_3) | instskip(SKIP_2) | instid1(VALU_DEP_2)
	v_add_f64 v[104:105], v[118:119], v[50:51]
	v_mul_f64 v[50:51], v[233:234], s[16:17]
	v_fma_f64 v[118:119], v[191:192], s[2:3], -v[100:101]
	v_fma_f64 v[120:121], v[197:198], s[2:3], v[50:51]
	s_delay_alu instid0(VALU_DEP_2) | instskip(SKIP_2) | instid1(VALU_DEP_4)
	v_add_f64 v[118:119], v[118:119], v[4:5]
	v_mul_f64 v[4:5], v[139:140], s[42:43]
	v_mul_f64 v[139:140], v[139:140], s[20:21]
	v_add_f64 v[120:121], v[120:121], v[133:134]
	v_mul_f64 v[133:134], v[135:136], s[36:37]
	s_delay_alu instid0(VALU_DEP_4) | instskip(SKIP_1) | instid1(VALU_DEP_3)
	v_fma_f64 v[102:103], v[235:236], s[28:29], -v[4:5]
	v_fma_f64 v[4:5], v[235:236], s[28:29], v[4:5]
	v_fma_f64 v[125:126], v[213:214], s[10:11], -v[133:134]
	s_delay_alu instid0(VALU_DEP_1) | instskip(SKIP_1) | instid1(VALU_DEP_1)
	v_add_f64 v[118:119], v[125:126], v[118:119]
	v_fma_f64 v[125:126], v[217:218], s[10:11], v[155:156]
	v_add_f64 v[120:121], v[125:126], v[120:121]
	v_fma_f64 v[125:126], v[221:222], s[28:29], -v[157:158]
	s_delay_alu instid0(VALU_DEP_1) | instskip(SKIP_1) | instid1(VALU_DEP_1)
	v_add_f64 v[118:119], v[125:126], v[118:119]
	v_fma_f64 v[125:126], v[225:226], s[28:29], v[159:160]
	v_add_f64 v[120:121], v[125:126], v[120:121]
	;; [unrolled: 5-line block ×3, first 2 shown]
	v_fma_f64 v[125:126], v[151:152], s[6:7], -v[26:27]
	v_fma_f64 v[26:27], v[151:152], s[6:7], v[26:27]
	s_delay_alu instid0(VALU_DEP_2) | instskip(SKIP_1) | instid1(VALU_DEP_1)
	v_add_f64 v[118:119], v[125:126], v[118:119]
	v_fma_f64 v[125:126], v[153:154], s[6:7], v[165:166]
	v_add_f64 v[120:121], v[125:126], v[120:121]
	v_fma_f64 v[125:126], v[191:192], s[6:7], -v[167:168]
	s_delay_alu instid0(VALU_DEP_1) | instskip(SKIP_1) | instid1(VALU_DEP_1)
	v_add_f64 v[125:126], v[125:126], v[127:128]
	v_fma_f64 v[127:128], v[197:198], s[6:7], v[169:170]
	v_add_f64 v[127:128], v[127:128], v[249:250]
	v_mul_f64 v[249:250], v[135:136], s[42:43]
	s_delay_alu instid0(VALU_DEP_1) | instskip(NEXT) | instid1(VALU_DEP_1)
	v_fma_f64 v[244:245], v[213:214], s[28:29], -v[249:250]
	v_add_f64 v[125:126], v[244:245], v[125:126]
	v_fma_f64 v[244:245], v[217:218], s[28:29], v[171:172]
	s_delay_alu instid0(VALU_DEP_1) | instskip(SKIP_1) | instid1(VALU_DEP_1)
	v_add_f64 v[127:128], v[244:245], v[127:128]
	v_fma_f64 v[244:245], v[221:222], s[12:13], -v[173:174]
	v_add_f64 v[125:126], v[244:245], v[125:126]
	v_fma_f64 v[244:245], v[225:226], s[12:13], v[175:176]
	s_delay_alu instid0(VALU_DEP_2) | instskip(SKIP_1) | instid1(VALU_DEP_3)
	v_add_f64 v[125:126], v[179:180], v[125:126]
	v_mul_f64 v[179:180], v[24:25], s[38:39]
	v_add_f64 v[127:128], v[244:245], v[127:128]
	s_delay_alu instid0(VALU_DEP_2) | instskip(NEXT) | instid1(VALU_DEP_1)
	v_fma_f64 v[244:245], v[239:240], s[2:3], v[179:180]
	v_add_f64 v[127:128], v[244:245], v[127:128]
	v_add_f64 v[244:245], v[30:31], v[125:126]
	v_mul_f64 v[30:31], v[46:47], s[40:41]
	s_delay_alu instid0(VALU_DEP_1) | instskip(SKIP_1) | instid1(VALU_DEP_2)
	v_fma_f64 v[125:126], v[153:154], s[14:15], v[30:31]
	v_fma_f64 v[30:31], v[153:154], s[14:15], -v[30:31]
	v_add_f64 v[246:247], v[125:126], v[127:128]
	v_fma_f64 v[125:126], v[197:198], s[12:13], v[129:130]
	s_delay_alu instid0(VALU_DEP_1) | instskip(SKIP_2) | instid1(VALU_DEP_3)
	v_add_f64 v[125:126], v[125:126], v[181:182]
	v_mul_f64 v[181:182], v[135:136], s[24:25]
	v_mul_f64 v[135:136], v[135:136], s[18:19]
	v_add_f64 v[38:39], v[38:39], v[125:126]
	s_delay_alu instid0(VALU_DEP_3) | instskip(NEXT) | instid1(VALU_DEP_1)
	v_fma_f64 v[127:128], v[213:214], s[14:15], -v[181:182]
	v_add_f64 v[34:35], v[127:128], v[34:35]
	s_delay_alu instid0(VALU_DEP_1) | instskip(SKIP_2) | instid1(VALU_DEP_3)
	v_add_f64 v[34:35], v[42:43], v[34:35]
	v_mul_f64 v[42:43], v[48:49], s[38:39]
	v_mul_f64 v[48:49], v[48:49], s[40:41]
	v_add_f64 v[34:35], v[102:103], v[34:35]
	s_delay_alu instid0(VALU_DEP_3) | instskip(SKIP_2) | instid1(VALU_DEP_3)
	v_fma_f64 v[125:126], v[225:226], s[2:3], v[42:43]
	v_mul_f64 v[102:103], v[24:25], s[42:43]
	v_mul_f64 v[24:25], v[24:25], s[20:21]
	v_add_f64 v[38:39], v[125:126], v[38:39]
	s_delay_alu instid0(VALU_DEP_3) | instskip(NEXT) | instid1(VALU_DEP_1)
	v_fma_f64 v[125:126], v[239:240], s[28:29], v[102:103]
	v_add_f64 v[38:39], v[125:126], v[38:39]
	v_fma_f64 v[125:126], v[151:152], s[10:11], -v[141:142]
	s_delay_alu instid0(VALU_DEP_1) | instskip(SKIP_2) | instid1(VALU_DEP_2)
	v_add_f64 v[125:126], v[125:126], v[34:35]
	v_mul_f64 v[34:35], v[46:47], s[20:21]
	v_mul_f64 v[46:47], v[46:47], s[34:35]
	v_fma_f64 v[127:128], v[153:154], s[10:11], v[34:35]
	v_fma_f64 v[34:35], v[153:154], s[10:11], -v[34:35]
	s_delay_alu instid0(VALU_DEP_2) | instskip(SKIP_1) | instid1(VALU_DEP_1)
	v_add_f64 v[127:128], v[127:128], v[38:39]
	v_mul_f64 v[38:39], v[131:132], s[42:43]
	v_fma_f64 v[131:132], v[191:192], s[28:29], -v[38:39]
	v_fma_f64 v[38:39], v[191:192], s[28:29], v[38:39]
	s_delay_alu instid0(VALU_DEP_2) | instskip(SKIP_1) | instid1(VALU_DEP_3)
	v_add_f64 v[131:132], v[131:132], v[231:232]
	v_fma_f64 v[231:232], v[197:198], s[28:29], v[143:144]
	v_add_f64 v[38:39], v[38:39], v[211:212]
	s_delay_alu instid0(VALU_DEP_2) | instskip(SKIP_2) | instid1(VALU_DEP_2)
	v_add_f64 v[229:230], v[231:232], v[229:230]
	v_fma_f64 v[231:232], v[213:214], s[6:7], -v[135:136]
	v_fma_f64 v[135:136], v[213:214], s[6:7], v[135:136]
	v_add_f64 v[131:132], v[231:232], v[131:132]
	v_fma_f64 v[231:232], v[217:218], s[6:7], v[137:138]
	s_delay_alu instid0(VALU_DEP_3) | instskip(SKIP_1) | instid1(VALU_DEP_3)
	v_add_f64 v[38:39], v[135:136], v[38:39]
	v_fma_f64 v[135:136], v[217:218], s[6:7], -v[137:138]
	v_add_f64 v[229:230], v[231:232], v[229:230]
	v_fma_f64 v[231:232], v[221:222], s[14:15], -v[44:45]
	v_fma_f64 v[44:45], v[221:222], s[14:15], v[44:45]
	s_delay_alu instid0(VALU_DEP_2) | instskip(SKIP_1) | instid1(VALU_DEP_3)
	v_add_f64 v[131:132], v[231:232], v[131:132]
	v_fma_f64 v[231:232], v[225:226], s[14:15], v[48:49]
	v_add_f64 v[38:39], v[44:45], v[38:39]
	v_fma_f64 v[44:45], v[225:226], s[14:15], -v[48:49]
	v_fma_f64 v[48:49], v[235:236], s[10:11], v[139:140]
	s_delay_alu instid0(VALU_DEP_4) | instskip(SKIP_1) | instid1(VALU_DEP_3)
	v_add_f64 v[229:230], v[231:232], v[229:230]
	v_fma_f64 v[231:232], v[235:236], s[10:11], -v[139:140]
	v_add_f64 v[38:39], v[48:49], v[38:39]
	s_delay_alu instid0(VALU_DEP_2) | instskip(SKIP_2) | instid1(VALU_DEP_2)
	v_add_f64 v[131:132], v[231:232], v[131:132]
	v_fma_f64 v[231:232], v[239:240], s[10:11], v[24:25]
	v_fma_f64 v[24:25], v[239:240], s[10:11], -v[24:25]
	v_add_f64 v[231:232], v[231:232], v[229:230]
	v_fma_f64 v[229:230], v[151:152], s[12:13], -v[149:150]
	s_delay_alu instid0(VALU_DEP_1) | instskip(SKIP_2) | instid1(VALU_DEP_2)
	v_add_f64 v[229:230], v[229:230], v[131:132]
	v_fma_f64 v[131:132], v[153:154], s[12:13], v[46:47]
	v_fma_f64 v[46:47], v[153:154], s[12:13], -v[46:47]
	v_add_f64 v[231:232], v[131:132], v[231:232]
	v_fma_f64 v[131:132], v[197:198], s[28:29], -v[143:144]
	s_delay_alu instid0(VALU_DEP_1) | instskip(NEXT) | instid1(VALU_DEP_1)
	v_add_f64 v[131:132], v[131:132], v[209:210]
	v_add_f64 v[131:132], v[135:136], v[131:132]
	s_delay_alu instid0(VALU_DEP_1) | instskip(NEXT) | instid1(VALU_DEP_1)
	v_add_f64 v[44:45], v[44:45], v[131:132]
	v_add_f64 v[24:25], v[24:25], v[44:45]
	v_fma_f64 v[44:45], v[151:152], s[12:13], v[149:150]
	s_delay_alu instid0(VALU_DEP_2) | instskip(SKIP_2) | instid1(VALU_DEP_4)
	v_add_f64 v[211:212], v[46:47], v[24:25]
	v_fma_f64 v[24:25], v[191:192], s[12:13], v[32:33]
	v_fma_f64 v[32:33], v[197:198], s[12:13], -v[129:130]
	v_add_f64 v[209:210], v[44:45], v[38:39]
	v_fma_f64 v[38:39], v[213:214], s[14:15], v[181:182]
	s_delay_alu instid0(VALU_DEP_4) | instskip(NEXT) | instid1(VALU_DEP_4)
	v_add_f64 v[24:25], v[24:25], v[207:208]
	v_add_f64 v[32:33], v[32:33], v[205:206]
	s_delay_alu instid0(VALU_DEP_2) | instskip(NEXT) | instid1(VALU_DEP_2)
	v_add_f64 v[24:25], v[38:39], v[24:25]
	v_add_f64 v[32:33], v[36:37], v[32:33]
	v_fma_f64 v[36:37], v[221:222], s[2:3], v[40:41]
	s_delay_alu instid0(VALU_DEP_1) | instskip(SKIP_1) | instid1(VALU_DEP_2)
	v_add_f64 v[24:25], v[36:37], v[24:25]
	v_fma_f64 v[36:37], v[225:226], s[2:3], -v[42:43]
	v_add_f64 v[4:5], v[4:5], v[24:25]
	s_delay_alu instid0(VALU_DEP_2) | instskip(SKIP_1) | instid1(VALU_DEP_1)
	v_add_f64 v[32:33], v[36:37], v[32:33]
	v_fma_f64 v[24:25], v[239:240], s[28:29], -v[102:103]
	v_add_f64 v[24:25], v[24:25], v[32:33]
	v_fma_f64 v[32:33], v[151:152], s[10:11], v[141:142]
	s_delay_alu instid0(VALU_DEP_2) | instskip(NEXT) | instid1(VALU_DEP_2)
	v_add_f64 v[207:208], v[34:35], v[24:25]
	v_add_f64 v[205:206], v[32:33], v[4:5]
	v_fma_f64 v[4:5], v[191:192], s[6:7], v[167:168]
	v_fma_f64 v[24:25], v[197:198], s[6:7], -v[169:170]
	v_fma_f64 v[32:33], v[213:214], s[28:29], v[249:250]
	s_delay_alu instid0(VALU_DEP_3) | instskip(NEXT) | instid1(VALU_DEP_3)
	v_add_f64 v[4:5], v[4:5], v[203:204]
	v_add_f64 v[24:25], v[24:25], v[201:202]
	s_delay_alu instid0(VALU_DEP_2) | instskip(SKIP_1) | instid1(VALU_DEP_1)
	v_add_f64 v[4:5], v[32:33], v[4:5]
	v_fma_f64 v[32:33], v[217:218], s[28:29], -v[171:172]
	v_add_f64 v[24:25], v[32:33], v[24:25]
	v_fma_f64 v[32:33], v[221:222], s[12:13], v[173:174]
	s_delay_alu instid0(VALU_DEP_1) | instskip(SKIP_1) | instid1(VALU_DEP_1)
	v_add_f64 v[4:5], v[32:33], v[4:5]
	v_fma_f64 v[32:33], v[225:226], s[12:13], -v[175:176]
	v_add_f64 v[24:25], v[32:33], v[24:25]
	v_fma_f64 v[32:33], v[235:236], s[2:3], v[177:178]
	s_delay_alu instid0(VALU_DEP_1) | instskip(SKIP_1) | instid1(VALU_DEP_2)
	v_add_f64 v[4:5], v[32:33], v[4:5]
	v_fma_f64 v[32:33], v[239:240], s[2:3], -v[179:180]
	v_add_f64 v[201:202], v[28:29], v[4:5]
	scratch_load_b64 v[28:29], off, off offset:368 ; 8-byte Folded Reload
	v_add_f64 v[24:25], v[32:33], v[24:25]
	v_fma_f64 v[4:5], v[191:192], s[2:3], v[100:101]
	v_fma_f64 v[32:33], v[225:226], s[10:11], -v[227:228]
	s_delay_alu instid0(VALU_DEP_3) | instskip(SKIP_4) | instid1(VALU_DEP_2)
	v_add_f64 v[203:204], v[30:31], v[24:25]
	scratch_load_b64 v[30:31], off, off offset:336 ; 8-byte Folded Reload
	v_fma_f64 v[24:25], v[197:198], s[2:3], -v[50:51]
	v_add_f64 v[4:5], v[4:5], v[187:188]
	s_waitcnt vmcnt(1)
	v_add_f64 v[24:25], v[24:25], v[28:29]
	v_fma_f64 v[28:29], v[213:214], s[10:11], v[133:134]
	s_delay_alu instid0(VALU_DEP_1) | instskip(SKIP_1) | instid1(VALU_DEP_1)
	v_add_f64 v[4:5], v[28:29], v[4:5]
	v_fma_f64 v[28:29], v[217:218], s[10:11], -v[155:156]
	v_add_f64 v[24:25], v[28:29], v[24:25]
	v_fma_f64 v[28:29], v[221:222], s[28:29], v[157:158]
	s_delay_alu instid0(VALU_DEP_1) | instskip(SKIP_1) | instid1(VALU_DEP_1)
	v_add_f64 v[4:5], v[28:29], v[4:5]
	v_fma_f64 v[28:29], v[225:226], s[28:29], -v[159:160]
	v_add_f64 v[24:25], v[28:29], v[24:25]
	v_fma_f64 v[28:29], v[235:236], s[14:15], v[161:162]
	s_delay_alu instid0(VALU_DEP_1) | instskip(SKIP_1) | instid1(VALU_DEP_2)
	v_add_f64 v[4:5], v[28:29], v[4:5]
	v_fma_f64 v[28:29], v[239:240], s[14:15], -v[163:164]
	v_add_f64 v[129:130], v[26:27], v[4:5]
	v_fma_f64 v[4:5], v[191:192], s[14:15], v[185:186]
	s_delay_alu instid0(VALU_DEP_3) | instskip(SKIP_3) | instid1(VALU_DEP_4)
	v_add_f64 v[24:25], v[28:29], v[24:25]
	v_fma_f64 v[28:29], v[153:154], s[6:7], -v[165:166]
	v_fma_f64 v[26:27], v[213:214], s[12:13], v[215:216]
	s_waitcnt vmcnt(0)
	v_add_f64 v[4:5], v[4:5], v[30:31]
	scratch_load_b64 v[30:31], off, off offset:344 ; 8-byte Folded Reload
	v_add_f64 v[131:132], v[28:29], v[24:25]
	v_fma_f64 v[24:25], v[197:198], s[14:15], -v[199:200]
	v_fma_f64 v[28:29], v[217:218], s[12:13], -v[219:220]
	v_add_f64 v[4:5], v[26:27], v[4:5]
	v_fma_f64 v[26:27], v[235:236], s[6:7], v[237:238]
	s_waitcnt vmcnt(0)
	s_delay_alu instid0(VALU_DEP_4) | instskip(SKIP_1) | instid1(VALU_DEP_2)
	v_add_f64 v[24:25], v[24:25], v[30:31]
	v_fma_f64 v[30:31], v[221:222], s[10:11], v[223:224]
	v_add_f64 v[24:25], v[28:29], v[24:25]
	v_fma_f64 v[28:29], v[239:240], s[6:7], -v[241:242]
	s_delay_alu instid0(VALU_DEP_3) | instskip(SKIP_1) | instid1(VALU_DEP_4)
	v_add_f64 v[4:5], v[30:31], v[4:5]
	v_fma_f64 v[30:31], v[151:152], s[2:3], v[110:111]
	v_add_f64 v[24:25], v[32:33], v[24:25]
	v_fma_f64 v[32:33], v[153:154], s[2:3], -v[108:109]
	s_delay_alu instid0(VALU_DEP_4) | instskip(NEXT) | instid1(VALU_DEP_3)
	v_add_f64 v[4:5], v[26:27], v[4:5]
	v_add_f64 v[24:25], v[28:29], v[24:25]
	s_delay_alu instid0(VALU_DEP_2) | instskip(NEXT) | instid1(VALU_DEP_2)
	v_add_f64 v[185:186], v[30:31], v[4:5]
	v_add_f64 v[187:188], v[32:33], v[24:25]
	s_clause 0x1
	scratch_load_b64 v[4:5], off, off offset:312
	scratch_load_b64 v[24:25], off, off offset:352
	s_waitcnt vmcnt(0)
	v_add_f64 v[4:5], v[4:5], v[24:25]
	s_clause 0x1
	scratch_load_b64 v[24:25], off, off offset:320
	scratch_load_b64 v[26:27], off, off offset:360
	s_waitcnt vmcnt(0)
	v_add_f64 v[24:25], v[24:25], v[26:27]
	scratch_load_b64 v[26:27], off, off offset:376 ; 8-byte Folded Reload
	s_waitcnt vmcnt(0)
	v_add_f64 v[4:5], v[4:5], v[26:27]
	scratch_load_b64 v[26:27], off, off offset:384 ; 8-byte Folded Reload
	;; [unrolled: 3-line block ×6, first 2 shown]
	v_add_f64 v[4:5], v[4:5], v[183:184]
	s_delay_alu instid0(VALU_DEP_1) | instskip(SKIP_4) | instid1(VALU_DEP_1)
	v_add_f64 v[4:5], v[4:5], v[193:194]
	s_waitcnt vmcnt(0)
	v_add_f64 v[24:25], v[24:25], v[26:27]
	scratch_load_b64 v[26:27], off, off offset:416 ; 8-byte Folded Reload
	v_add_f64 v[24:25], v[24:25], v[189:190]
	v_add_f64 v[24:25], v[24:25], v[195:196]
	s_waitcnt vmcnt(0)
	v_add_f64 v[4:5], v[4:5], v[26:27]
	scratch_load_b64 v[26:27], off, off offset:424 ; 8-byte Folded Reload
	s_waitcnt vmcnt(0)
	v_add_f64 v[24:25], v[24:25], v[26:27]
	scratch_load_b64 v[26:27], off, off offset:392 ; 8-byte Folded Reload
	v_add_f64 v[24:25], v[24:25], v[147:148]
	s_waitcnt vmcnt(0)
	v_add_f64 v[4:5], v[4:5], v[26:27]
	s_delay_alu instid0(VALU_DEP_1) | instskip(NEXT) | instid1(VALU_DEP_3)
	v_add_f64 v[4:5], v[4:5], v[6:7]
	v_add_f64 v[6:7], v[24:25], v[145:146]
	scratch_load_b64 v[24:25], off, off offset:328 ; 8-byte Folded Reload
	v_add_f64 v[4:5], v[4:5], v[122:123]
	s_waitcnt vmcnt(0)
	v_add_f64 v[6:7], v[6:7], v[24:25]
	scratch_load_b64 v[24:25], off, off offset:296 ; 8-byte Folded Reload
	s_waitcnt vmcnt(0)
	v_add_f64 v[108:109], v[4:5], v[24:25]
	scratch_load_b64 v[4:5], off, off offset:304 ; 8-byte Folded Reload
	s_waitcnt vmcnt(0)
	s_waitcnt_vscnt null, 0x0
	s_barrier
	buffer_gl0_inv
	v_add_f64 v[110:111], v[6:7], v[4:5]
	v_lshrrev_b32_e32 v4, 2, v116
	s_delay_alu instid0(VALU_DEP_1) | instskip(NEXT) | instid1(VALU_DEP_1)
	v_mul_u32_u24_e32 v4, 52, v4
	v_or_b32_e32 v4, v4, v117
	s_delay_alu instid0(VALU_DEP_1)
	v_lshl_add_u32 v4, v4, 4, 0
	ds_store_b128 v4, v[251:254] offset:128
	ds_store_b128 v4, v[118:121] offset:192
	;; [unrolled: 1-line block ×12, first 2 shown]
	ds_store_b128 v4, v[108:111]
	scratch_load_b32 v4, off, off offset:148 ; 4-byte Folded Reload
	s_waitcnt vmcnt(0)
	v_sub_nc_u32_e32 v104, 0, v4
	v_lshlrev_b32_e32 v4, 4, v124
	s_delay_alu instid0(VALU_DEP_1)
	v_sub_nc_u32_e32 v107, 0, v4
	scratch_load_b32 v4, off, off offset:152 ; 4-byte Folded Reload
	s_waitcnt vmcnt(0)
	v_sub_nc_u32_e32 v108, 0, v4
	scratch_load_b32 v4, off, off offset:156 ; 4-byte Folded Reload
	s_waitcnt vmcnt(0)
	;; [unrolled: 3-line block ×4, first 2 shown]
	v_sub_nc_u32_e32 v106, 0, v4
	s_and_saveexec_b32 s1, s0
	s_cbranch_execz .LBB0_17
; %bb.16:
	s_clause 0x1
	scratch_load_b128 v[24:27], off, off offset:200
	scratch_load_b128 v[44:47], off, off offset:168
	s_waitcnt vmcnt(1)
	v_mul_f64 v[4:5], v[24:25], v[54:55]
	s_delay_alu instid0(VALU_DEP_1) | instskip(SKIP_1) | instid1(VALU_DEP_1)
	v_fma_f64 v[100:101], v[26:27], v[52:53], v[4:5]
	v_mul_f64 v[4:5], v[26:27], v[54:55]
	v_fma_f64 v[102:103], v[24:25], v[52:53], -v[4:5]
	scratch_load_b128 v[24:27], off, off offset:232 ; 16-byte Folded Reload
	v_mul_f64 v[4:5], v[12:13], v[94:95]
	s_delay_alu instid0(VALU_DEP_1) | instskip(SKIP_1) | instid1(VALU_DEP_1)
	v_fma_f64 v[28:29], v[14:15], v[92:93], v[4:5]
	v_mul_f64 v[4:5], v[14:15], v[94:95]
	v_fma_f64 v[12:13], v[12:13], v[92:93], -v[4:5]
	s_waitcnt vmcnt(0)
	v_mul_f64 v[4:5], v[24:25], v[98:99]
	s_delay_alu instid0(VALU_DEP_1) | instskip(SKIP_1) | instid1(VALU_DEP_2)
	v_fma_f64 v[14:15], v[26:27], v[96:97], v[4:5]
	v_mul_f64 v[4:5], v[26:27], v[98:99]
	v_add_f64 v[157:158], v[28:29], v[14:15]
	s_delay_alu instid0(VALU_DEP_2)
	v_fma_f64 v[30:31], v[24:25], v[96:97], -v[4:5]
	scratch_load_b128 v[24:27], off, off offset:216 ; 16-byte Folded Reload
	v_add_f64 v[163:164], v[28:29], -v[14:15]
	v_mul_f64 v[161:162], v[157:158], s[12:13]
	v_add_f64 v[159:160], v[12:13], -v[30:31]
	v_add_f64 v[165:166], v[12:13], v[30:31]
	s_delay_alu instid0(VALU_DEP_4) | instskip(SKIP_4) | instid1(VALU_DEP_1)
	v_mul_f64 v[167:168], v[163:164], s[34:35]
	v_mul_f64 v[185:186], v[157:158], s[28:29]
	;; [unrolled: 1-line block ×3, first 2 shown]
	s_waitcnt vmcnt(0)
	v_mul_f64 v[4:5], v[24:25], v[78:79]
	v_fma_f64 v[36:37], v[26:27], v[76:77], v[4:5]
	v_mul_f64 v[4:5], v[26:27], v[78:79]
	s_delay_alu instid0(VALU_DEP_1) | instskip(SKIP_2) | instid1(VALU_DEP_1)
	v_fma_f64 v[34:35], v[24:25], v[76:77], -v[4:5]
	scratch_load_b128 v[24:27], off, off offset:248 ; 16-byte Folded Reload
	v_mul_f64 v[4:5], v[16:17], v[86:87]
	v_fma_f64 v[32:33], v[18:19], v[84:85], v[4:5]
	v_mul_f64 v[4:5], v[18:19], v[86:87]
	s_delay_alu instid0(VALU_DEP_2) | instskip(NEXT) | instid1(VALU_DEP_2)
	v_add_f64 v[147:148], v[36:37], v[32:33]
	v_fma_f64 v[16:17], v[16:17], v[84:85], -v[4:5]
	v_mul_f64 v[4:5], v[8:9], v[74:75]
	v_add_f64 v[151:152], v[36:37], -v[32:33]
	s_delay_alu instid0(VALU_DEP_4) | instskip(NEXT) | instid1(VALU_DEP_4)
	v_mul_f64 v[181:182], v[147:148], s[12:13]
	v_add_f64 v[149:150], v[34:35], -v[16:17]
	s_delay_alu instid0(VALU_DEP_4) | instskip(SKIP_3) | instid1(VALU_DEP_3)
	v_fma_f64 v[18:19], v[10:11], v[72:73], v[4:5]
	v_mul_f64 v[4:5], v[10:11], v[74:75]
	v_add_f64 v[153:154], v[34:35], v[16:17]
	v_mul_f64 v[183:184], v[151:152], s[34:35]
	v_fma_f64 v[38:39], v[8:9], v[72:73], -v[4:5]
	s_waitcnt vmcnt(0)
	v_mul_f64 v[4:5], v[24:25], v[90:91]
	s_delay_alu instid0(VALU_DEP_1) | instskip(SKIP_1) | instid1(VALU_DEP_2)
	v_fma_f64 v[8:9], v[26:27], v[88:89], v[4:5]
	v_mul_f64 v[4:5], v[26:27], v[90:91]
	v_add_f64 v[139:140], v[18:19], v[8:9]
	s_delay_alu instid0(VALU_DEP_2)
	v_fma_f64 v[10:11], v[24:25], v[88:89], -v[4:5]
	scratch_load_b128 v[24:27], off, off offset:184 ; 16-byte Folded Reload
	v_add_f64 v[143:144], v[18:19], -v[8:9]
	v_mul_f64 v[177:178], v[139:140], s[6:7]
	v_add_f64 v[141:142], v[38:39], -v[10:11]
	v_add_f64 v[145:146], v[38:39], v[10:11]
	s_delay_alu instid0(VALU_DEP_4) | instskip(SKIP_2) | instid1(VALU_DEP_1)
	v_mul_f64 v[179:180], v[143:144], s[30:31]
	s_waitcnt vmcnt(0)
	v_mul_f64 v[4:5], v[24:25], v[70:71]
	v_fma_f64 v[40:41], v[26:27], v[68:69], v[4:5]
	v_mul_f64 v[4:5], v[26:27], v[70:71]
	s_delay_alu instid0(VALU_DEP_1) | instskip(SKIP_1) | instid1(VALU_DEP_1)
	v_fma_f64 v[42:43], v[24:25], v[68:69], -v[4:5]
	v_mul_f64 v[4:5], v[20:21], v[82:83]
	v_fma_f64 v[24:25], v[22:23], v[80:81], v[4:5]
	v_mul_f64 v[4:5], v[22:23], v[82:83]
	s_delay_alu instid0(VALU_DEP_2) | instskip(NEXT) | instid1(VALU_DEP_2)
	v_add_f64 v[131:132], v[40:41], v[24:25]
	v_fma_f64 v[20:21], v[20:21], v[80:81], -v[4:5]
	v_mul_f64 v[4:5], v[44:45], v[62:63]
	v_add_f64 v[135:136], v[40:41], -v[24:25]
	s_delay_alu instid0(VALU_DEP_4) | instskip(NEXT) | instid1(VALU_DEP_4)
	v_mul_f64 v[173:174], v[131:132], s[2:3]
	v_add_f64 v[133:134], v[42:43], -v[20:21]
	s_delay_alu instid0(VALU_DEP_4) | instskip(SKIP_3) | instid1(VALU_DEP_3)
	v_fma_f64 v[52:53], v[46:47], v[60:61], v[4:5]
	v_mul_f64 v[4:5], v[46:47], v[62:63]
	v_add_f64 v[137:138], v[42:43], v[20:21]
	v_mul_f64 v[175:176], v[135:136], s[16:17]
	v_fma_f64 v[54:55], v[44:45], v[60:61], -v[4:5]
	scratch_load_b128 v[44:47], off, off offset:264 ; 16-byte Folded Reload
	s_waitcnt vmcnt(0)
	v_mul_f64 v[4:5], v[44:45], v[66:67]
	v_mul_f64 v[6:7], v[46:47], v[66:67]
	s_delay_alu instid0(VALU_DEP_2) | instskip(NEXT) | instid1(VALU_DEP_2)
	v_fma_f64 v[4:5], v[46:47], v[64:65], v[4:5]
	v_fma_f64 v[6:7], v[44:45], v[64:65], -v[6:7]
	scratch_load_b128 v[44:47], off, off offset:280 ; 16-byte Folded Reload
	v_add_f64 v[125:126], v[52:53], v[4:5]
	v_add_f64 v[127:128], v[52:53], -v[4:5]
	v_add_f64 v[129:130], v[54:55], v[6:7]
	s_delay_alu instid0(VALU_DEP_3) | instskip(NEXT) | instid1(VALU_DEP_3)
	v_mul_f64 v[169:170], v[125:126], s[10:11]
	v_mul_f64 v[171:172], v[127:128], s[20:21]
	;; [unrolled: 1-line block ×3, first 2 shown]
	s_waitcnt vmcnt(0)
	v_mul_f64 v[22:23], v[44:45], v[58:59]
	v_mul_f64 v[26:27], v[46:47], v[58:59]
	s_delay_alu instid0(VALU_DEP_2) | instskip(NEXT) | instid1(VALU_DEP_2)
	v_fma_f64 v[22:23], v[46:47], v[56:57], v[22:23]
	v_fma_f64 v[26:27], v[44:45], v[56:57], -v[26:27]
	s_delay_alu instid0(VALU_DEP_2) | instskip(NEXT) | instid1(VALU_DEP_2)
	v_add_f64 v[44:45], v[100:101], v[22:23]
	v_add_f64 v[60:61], v[102:103], -v[26:27]
	v_add_f64 v[84:85], v[102:103], v[26:27]
	s_delay_alu instid0(VALU_DEP_3)
	v_mul_f64 v[46:47], v[44:45], s[2:3]
	v_mul_f64 v[48:49], v[44:45], s[6:7]
	;; [unrolled: 1-line block ×6, first 2 shown]
	v_fma_f64 v[62:63], v[60:61], s[38:39], v[46:47]
	v_fma_f64 v[64:65], v[60:61], s[16:17], v[46:47]
	;; [unrolled: 1-line block ×12, first 2 shown]
	v_add_f64 v[44:45], v[100:101], -v[22:23]
	v_add_f64 v[62:63], v[2:3], v[62:63]
	v_add_f64 v[64:65], v[2:3], v[64:65]
	;; [unrolled: 1-line block ×7, first 2 shown]
	v_mul_f64 v[46:47], v[44:45], s[16:17]
	v_mul_f64 v[76:77], v[44:45], s[18:19]
	;; [unrolled: 1-line block ×6, first 2 shown]
	v_fma_f64 v[86:87], v[84:85], s[2:3], v[46:47]
	v_fma_f64 v[88:89], v[84:85], s[2:3], -v[46:47]
	v_fma_f64 v[90:91], v[84:85], s[6:7], v[76:77]
	v_fma_f64 v[76:77], v[84:85], s[6:7], -v[76:77]
	;; [unrolled: 2-line block ×6, first 2 shown]
	v_add_f64 v[44:45], v[2:3], v[100:101]
	v_add_f64 v[46:47], v[0:1], v[102:103]
	;; [unrolled: 1-line block ×5, first 2 shown]
	v_mul_f64 v[68:69], v[131:132], s[6:7]
	v_add_f64 v[86:87], v[0:1], v[86:87]
	v_add_f64 v[88:89], v[0:1], v[88:89]
	v_add_f64 v[90:91], v[0:1], v[90:91]
	v_add_f64 v[76:77], v[0:1], v[76:77]
	v_add_f64 v[92:93], v[0:1], v[92:93]
	v_add_f64 v[113:114], v[0:1], v[78:79]
	v_add_f64 v[94:95], v[0:1], v[94:95]
	v_add_f64 v[80:81], v[0:1], v[80:81]
	v_add_f64 v[96:97], v[0:1], v[96:97]
	v_add_f64 v[78:79], v[2:3], v[58:59]
	v_add_f64 v[82:83], v[0:1], v[82:83]
	v_add_f64 v[50:51], v[0:1], v[98:99]
	v_add_f64 v[2:3], v[2:3], v[60:61]
	v_add_f64 v[98:99], v[0:1], v[84:85]
	v_add_f64 v[0:1], v[54:55], -v[6:7]
	v_mul_f64 v[60:61], v[125:126], s[28:29]
	v_fma_f64 v[70:71], v[133:134], s[30:31], v[68:69]
	s_delay_alu instid0(VALU_DEP_2) | instskip(SKIP_1) | instid1(VALU_DEP_2)
	v_fma_f64 v[56:57], v[0:1], s[26:27], v[60:61]
	v_fma_f64 v[60:61], v[0:1], s[42:43], v[60:61]
	v_add_f64 v[56:57], v[56:57], v[62:63]
	v_mul_f64 v[62:63], v[127:128], s[42:43]
	s_delay_alu instid0(VALU_DEP_3)
	v_add_f64 v[60:61], v[60:61], v[64:65]
	v_fma_f64 v[64:65], v[133:134], s[18:19], v[68:69]
	v_fma_f64 v[68:69], v[165:166], s[12:13], -v[167:168]
	v_add_f64 v[56:57], v[70:71], v[56:57]
	v_fma_f64 v[58:59], v[129:130], s[28:29], v[62:63]
	v_mul_f64 v[70:71], v[135:136], s[18:19]
	v_fma_f64 v[62:63], v[129:130], s[28:29], -v[62:63]
	v_add_f64 v[60:61], v[64:65], v[60:61]
	s_delay_alu instid0(VALU_DEP_4) | instskip(NEXT) | instid1(VALU_DEP_4)
	v_add_f64 v[58:59], v[58:59], v[86:87]
	v_fma_f64 v[72:73], v[137:138], s[6:7], v[70:71]
	s_delay_alu instid0(VALU_DEP_4) | instskip(SKIP_2) | instid1(VALU_DEP_4)
	v_add_f64 v[62:63], v[62:63], v[88:89]
	v_fma_f64 v[64:65], v[137:138], s[6:7], -v[70:71]
	v_mul_f64 v[70:71], v[127:128], s[34:35]
	v_add_f64 v[58:59], v[72:73], v[58:59]
	v_mul_f64 v[72:73], v[139:140], s[14:15]
	s_delay_alu instid0(VALU_DEP_4) | instskip(NEXT) | instid1(VALU_DEP_2)
	v_add_f64 v[62:63], v[64:65], v[62:63]
	v_fma_f64 v[74:75], v[141:142], s[24:25], v[72:73]
	v_fma_f64 v[64:65], v[141:142], s[40:41], v[72:73]
	v_mul_f64 v[72:73], v[131:132], s[14:15]
	s_delay_alu instid0(VALU_DEP_3) | instskip(SKIP_1) | instid1(VALU_DEP_4)
	v_add_f64 v[56:57], v[74:75], v[56:57]
	v_mul_f64 v[74:75], v[143:144], s[40:41]
	v_add_f64 v[60:61], v[64:65], v[60:61]
	s_delay_alu instid0(VALU_DEP_2) | instskip(SKIP_3) | instid1(VALU_DEP_4)
	v_fma_f64 v[84:85], v[145:146], s[14:15], v[74:75]
	v_fma_f64 v[64:65], v[145:146], s[14:15], -v[74:75]
	v_fma_f64 v[74:75], v[133:134], s[40:41], v[72:73]
	v_fma_f64 v[72:73], v[133:134], s[24:25], v[72:73]
	v_add_f64 v[58:59], v[84:85], v[58:59]
	v_mul_f64 v[84:85], v[147:148], s[10:11]
	v_add_f64 v[62:63], v[64:65], v[62:63]
	s_delay_alu instid0(VALU_DEP_2) | instskip(SKIP_1) | instid1(VALU_DEP_2)
	v_fma_f64 v[86:87], v[149:150], s[36:37], v[84:85]
	v_fma_f64 v[64:65], v[149:150], s[20:21], v[84:85]
	v_add_f64 v[56:57], v[86:87], v[56:57]
	v_mul_f64 v[86:87], v[151:152], s[20:21]
	s_delay_alu instid0(VALU_DEP_3) | instskip(NEXT) | instid1(VALU_DEP_2)
	v_add_f64 v[60:61], v[64:65], v[60:61]
	v_fma_f64 v[64:65], v[153:154], s[10:11], -v[86:87]
	v_fma_f64 v[155:156], v[153:154], s[10:11], v[86:87]
	s_delay_alu instid0(VALU_DEP_2) | instskip(SKIP_1) | instid1(VALU_DEP_3)
	v_add_f64 v[64:65], v[64:65], v[62:63]
	v_fma_f64 v[62:63], v[159:160], s[34:35], v[161:162]
	v_add_f64 v[155:156], v[155:156], v[58:59]
	v_fma_f64 v[58:59], v[159:160], s[22:23], v[161:162]
	v_mul_f64 v[161:162], v[157:158], s[10:11]
	s_delay_alu instid0(VALU_DEP_4)
	v_add_f64 v[62:63], v[62:63], v[60:61]
	v_add_f64 v[60:61], v[68:69], v[64:65]
	v_mul_f64 v[68:69], v[125:126], s[12:13]
	v_add_f64 v[58:59], v[58:59], v[56:57]
	v_fma_f64 v[56:57], v[165:166], s[12:13], v[167:168]
	v_mul_f64 v[167:168], v[163:164], s[20:21]
	s_delay_alu instid0(VALU_DEP_4) | instskip(SKIP_1) | instid1(VALU_DEP_4)
	v_fma_f64 v[64:65], v[0:1], s[22:23], v[68:69]
	v_fma_f64 v[68:69], v[0:1], s[34:35], v[68:69]
	v_add_f64 v[56:57], v[56:57], v[155:156]
	s_delay_alu instid0(VALU_DEP_3) | instskip(SKIP_1) | instid1(VALU_DEP_4)
	v_add_f64 v[64:65], v[64:65], v[66:67]
	v_fma_f64 v[66:67], v[129:130], s[12:13], v[70:71]
	v_add_f64 v[68:69], v[68:69], v[100:101]
	v_fma_f64 v[70:71], v[129:130], s[12:13], -v[70:71]
	v_mul_f64 v[100:101], v[143:144], s[22:23]
	v_add_f64 v[64:65], v[74:75], v[64:65]
	v_mul_f64 v[74:75], v[135:136], s[24:25]
	v_add_f64 v[66:67], v[66:67], v[90:91]
	v_add_f64 v[70:71], v[70:71], v[76:77]
	;; [unrolled: 1-line block ×3, first 2 shown]
	s_delay_alu instid0(VALU_DEP_4) | instskip(SKIP_2) | instid1(VALU_DEP_3)
	v_fma_f64 v[84:85], v[137:138], s[14:15], v[74:75]
	v_fma_f64 v[72:73], v[137:138], s[14:15], -v[74:75]
	v_fma_f64 v[74:75], v[165:166], s[10:11], -v[167:168]
	v_add_f64 v[66:67], v[84:85], v[66:67]
	v_mul_f64 v[84:85], v[139:140], s[2:3]
	s_delay_alu instid0(VALU_DEP_4) | instskip(NEXT) | instid1(VALU_DEP_2)
	v_add_f64 v[70:71], v[72:73], v[70:71]
	v_fma_f64 v[86:87], v[141:142], s[16:17], v[84:85]
	v_fma_f64 v[72:73], v[141:142], s[38:39], v[84:85]
	v_mul_f64 v[84:85], v[125:126], s[6:7]
	s_delay_alu instid0(VALU_DEP_3) | instskip(SKIP_1) | instid1(VALU_DEP_4)
	v_add_f64 v[64:65], v[86:87], v[64:65]
	v_mul_f64 v[86:87], v[143:144], s[38:39]
	v_add_f64 v[68:69], v[72:73], v[68:69]
	s_delay_alu instid0(VALU_DEP_2) | instskip(SKIP_2) | instid1(VALU_DEP_3)
	v_fma_f64 v[88:89], v[145:146], s[2:3], v[86:87]
	v_fma_f64 v[72:73], v[145:146], s[2:3], -v[86:87]
	v_mul_f64 v[86:87], v[127:128], s[30:31]
	v_add_f64 v[66:67], v[88:89], v[66:67]
	v_mul_f64 v[88:89], v[147:148], s[28:29]
	s_delay_alu instid0(VALU_DEP_4) | instskip(NEXT) | instid1(VALU_DEP_2)
	v_add_f64 v[70:71], v[72:73], v[70:71]
	v_fma_f64 v[90:91], v[149:150], s[26:27], v[88:89]
	v_fma_f64 v[72:73], v[149:150], s[42:43], v[88:89]
	v_mul_f64 v[88:89], v[131:132], s[28:29]
	s_delay_alu instid0(VALU_DEP_3) | instskip(SKIP_1) | instid1(VALU_DEP_4)
	v_add_f64 v[64:65], v[90:91], v[64:65]
	v_mul_f64 v[90:91], v[151:152], s[42:43]
	v_add_f64 v[68:69], v[72:73], v[68:69]
	s_delay_alu instid0(VALU_DEP_4) | instskip(SKIP_1) | instid1(VALU_DEP_4)
	v_fma_f64 v[76:77], v[133:134], s[26:27], v[88:89]
	v_fma_f64 v[88:89], v[133:134], s[42:43], v[88:89]
	v_fma_f64 v[72:73], v[153:154], s[28:29], -v[90:91]
	v_fma_f64 v[155:156], v[153:154], s[28:29], v[90:91]
	v_mul_f64 v[90:91], v[135:136], s[42:43]
	s_delay_alu instid0(VALU_DEP_3) | instskip(SKIP_1) | instid1(VALU_DEP_4)
	v_add_f64 v[72:73], v[72:73], v[70:71]
	v_fma_f64 v[70:71], v[159:160], s[20:21], v[161:162]
	v_add_f64 v[155:156], v[155:156], v[66:67]
	v_fma_f64 v[66:67], v[159:160], s[36:37], v[161:162]
	v_mul_f64 v[161:162], v[157:158], s[14:15]
	s_delay_alu instid0(VALU_DEP_4)
	v_add_f64 v[70:71], v[70:71], v[68:69]
	v_add_f64 v[68:69], v[74:75], v[72:73]
	v_fma_f64 v[72:73], v[0:1], s[18:19], v[84:85]
	v_fma_f64 v[74:75], v[129:130], s[6:7], v[86:87]
	v_add_f64 v[66:67], v[66:67], v[64:65]
	v_fma_f64 v[64:65], v[165:166], s[10:11], v[167:168]
	v_mul_f64 v[167:168], v[163:164], s[40:41]
	v_fma_f64 v[84:85], v[0:1], s[30:31], v[84:85]
	v_fma_f64 v[86:87], v[129:130], s[6:7], -v[86:87]
	v_add_f64 v[72:73], v[72:73], v[102:103]
	v_add_f64 v[74:75], v[74:75], v[92:93]
	v_mul_f64 v[92:93], v[139:140], s[12:13]
	v_mul_f64 v[102:103], v[147:148], s[2:3]
	v_add_f64 v[64:65], v[64:65], v[155:156]
	v_mul_f64 v[155:156], v[151:152], s[38:39]
	v_add_f64 v[84:85], v[84:85], v[111:112]
	v_add_f64 v[86:87], v[86:87], v[113:114]
	v_mul_f64 v[111:112], v[131:132], s[12:13]
	v_mul_f64 v[113:114], v[135:136], s[22:23]
	v_add_f64 v[72:73], v[76:77], v[72:73]
	v_fma_f64 v[76:77], v[137:138], s[28:29], v[90:91]
	v_add_f64 v[84:85], v[88:89], v[84:85]
	v_fma_f64 v[88:89], v[137:138], s[28:29], -v[90:91]
	v_fma_f64 v[90:91], v[165:166], s[14:15], -v[167:168]
	s_delay_alu instid0(VALU_DEP_4) | instskip(SKIP_1) | instid1(VALU_DEP_4)
	v_add_f64 v[74:75], v[76:77], v[74:75]
	v_fma_f64 v[76:77], v[141:142], s[34:35], v[92:93]
	v_add_f64 v[86:87], v[88:89], v[86:87]
	v_fma_f64 v[88:89], v[141:142], s[22:23], v[92:93]
	s_delay_alu instid0(VALU_DEP_3) | instskip(SKIP_1) | instid1(VALU_DEP_3)
	v_add_f64 v[72:73], v[76:77], v[72:73]
	v_fma_f64 v[76:77], v[145:146], s[12:13], v[100:101]
	v_add_f64 v[84:85], v[88:89], v[84:85]
	v_fma_f64 v[88:89], v[145:146], s[12:13], -v[100:101]
	v_fma_f64 v[100:101], v[165:166], s[28:29], v[187:188]
	s_delay_alu instid0(VALU_DEP_4) | instskip(SKIP_1) | instid1(VALU_DEP_4)
	v_add_f64 v[74:75], v[76:77], v[74:75]
	v_fma_f64 v[76:77], v[149:150], s[16:17], v[102:103]
	v_add_f64 v[86:87], v[88:89], v[86:87]
	v_fma_f64 v[88:89], v[149:150], s[38:39], v[102:103]
	v_mul_f64 v[102:103], v[127:128], s[24:25]
	s_delay_alu instid0(VALU_DEP_4) | instskip(SKIP_1) | instid1(VALU_DEP_4)
	v_add_f64 v[72:73], v[76:77], v[72:73]
	v_fma_f64 v[76:77], v[153:154], s[2:3], v[155:156]
	v_add_f64 v[84:85], v[88:89], v[84:85]
	v_fma_f64 v[88:89], v[153:154], s[2:3], -v[155:156]
	s_delay_alu instid0(VALU_DEP_3) | instskip(SKIP_1) | instid1(VALU_DEP_3)
	v_add_f64 v[76:77], v[76:77], v[74:75]
	v_fma_f64 v[74:75], v[159:160], s[24:25], v[161:162]
	v_add_f64 v[88:89], v[88:89], v[86:87]
	v_fma_f64 v[86:87], v[159:160], s[40:41], v[161:162]
	s_delay_alu instid0(VALU_DEP_3) | instskip(SKIP_1) | instid1(VALU_DEP_3)
	v_add_f64 v[74:75], v[74:75], v[72:73]
	v_fma_f64 v[72:73], v[165:166], s[14:15], v[167:168]
	v_add_f64 v[86:87], v[86:87], v[84:85]
	v_add_f64 v[84:85], v[90:91], v[88:89]
	v_fma_f64 v[88:89], v[0:1], s[38:39], v[189:190]
	s_delay_alu instid0(VALU_DEP_4) | instskip(SKIP_1) | instid1(VALU_DEP_3)
	v_add_f64 v[72:73], v[72:73], v[76:77]
	v_fma_f64 v[76:77], v[0:1], s[20:21], v[169:170]
	v_add_f64 v[88:89], v[88:89], v[118:119]
	v_mul_f64 v[118:119], v[139:140], s[10:11]
	s_delay_alu instid0(VALU_DEP_3) | instskip(SKIP_1) | instid1(VALU_DEP_1)
	v_add_f64 v[76:77], v[76:77], v[78:79]
	v_fma_f64 v[78:79], v[129:130], s[10:11], -v[171:172]
	v_add_f64 v[78:79], v[78:79], v[82:83]
	v_fma_f64 v[82:83], v[133:134], s[16:17], v[173:174]
	s_delay_alu instid0(VALU_DEP_1) | instskip(SKIP_1) | instid1(VALU_DEP_1)
	v_add_f64 v[76:77], v[82:83], v[76:77]
	v_fma_f64 v[82:83], v[137:138], s[2:3], -v[175:176]
	v_add_f64 v[78:79], v[82:83], v[78:79]
	v_fma_f64 v[82:83], v[141:142], s[30:31], v[177:178]
	s_delay_alu instid0(VALU_DEP_1) | instskip(SKIP_1) | instid1(VALU_DEP_1)
	;; [unrolled: 5-line block ×4, first 2 shown]
	v_add_f64 v[78:79], v[78:79], v[76:77]
	v_fma_f64 v[76:77], v[165:166], s[28:29], -v[187:188]
	v_add_f64 v[76:77], v[76:77], v[82:83]
	v_fma_f64 v[82:83], v[0:1], s[16:17], v[189:190]
	s_delay_alu instid0(VALU_DEP_1) | instskip(SKIP_2) | instid1(VALU_DEP_2)
	v_add_f64 v[82:83], v[82:83], v[120:121]
	v_mul_f64 v[120:121], v[127:128], s[16:17]
	v_mul_f64 v[127:128], v[157:158], s[2:3]
	v_fma_f64 v[191:192], v[129:130], s[2:3], -v[120:121]
	v_fma_f64 v[90:91], v[129:130], s[2:3], v[120:121]
	v_mul_f64 v[120:121], v[143:144], s[20:21]
	s_delay_alu instid0(VALU_DEP_3) | instskip(SKIP_1) | instid1(VALU_DEP_4)
	v_add_f64 v[80:81], v[191:192], v[80:81]
	v_mul_f64 v[191:192], v[131:132], s[10:11]
	v_add_f64 v[90:91], v[90:91], v[94:95]
	v_mul_f64 v[131:132], v[163:164], s[16:17]
	s_delay_alu instid0(VALU_DEP_3) | instskip(SKIP_1) | instid1(VALU_DEP_2)
	v_fma_f64 v[193:194], v[133:134], s[36:37], v[191:192]
	v_fma_f64 v[92:93], v[133:134], s[20:21], v[191:192]
	v_add_f64 v[82:83], v[193:194], v[82:83]
	v_mul_f64 v[193:194], v[135:136], s[36:37]
	s_delay_alu instid0(VALU_DEP_3) | instskip(NEXT) | instid1(VALU_DEP_2)
	v_add_f64 v[88:89], v[92:93], v[88:89]
	v_fma_f64 v[195:196], v[137:138], s[10:11], -v[193:194]
	v_fma_f64 v[92:93], v[137:138], s[10:11], v[193:194]
	s_delay_alu instid0(VALU_DEP_2) | instskip(SKIP_1) | instid1(VALU_DEP_3)
	v_add_f64 v[80:81], v[195:196], v[80:81]
	v_mul_f64 v[195:196], v[139:140], s[28:29]
	v_add_f64 v[90:91], v[92:93], v[90:91]
	s_delay_alu instid0(VALU_DEP_2) | instskip(SKIP_1) | instid1(VALU_DEP_2)
	v_fma_f64 v[197:198], v[141:142], s[42:43], v[195:196]
	v_fma_f64 v[92:93], v[141:142], s[26:27], v[195:196]
	v_add_f64 v[82:83], v[197:198], v[82:83]
	v_mul_f64 v[197:198], v[143:144], s[42:43]
	s_delay_alu instid0(VALU_DEP_3) | instskip(NEXT) | instid1(VALU_DEP_2)
	v_add_f64 v[88:89], v[92:93], v[88:89]
	v_fma_f64 v[199:200], v[145:146], s[28:29], -v[197:198]
	v_fma_f64 v[92:93], v[145:146], s[28:29], v[197:198]
	s_delay_alu instid0(VALU_DEP_2) | instskip(SKIP_1) | instid1(VALU_DEP_3)
	v_add_f64 v[80:81], v[199:200], v[80:81]
	v_mul_f64 v[199:200], v[147:148], s[14:15]
	v_add_f64 v[90:91], v[92:93], v[90:91]
	s_delay_alu instid0(VALU_DEP_2) | instskip(SKIP_1) | instid1(VALU_DEP_2)
	;; [unrolled: 13-line block ×3, first 2 shown]
	v_fma_f64 v[205:206], v[159:160], s[18:19], v[203:204]
	v_fma_f64 v[90:91], v[159:160], s[30:31], v[203:204]
	v_add_f64 v[82:83], v[205:206], v[82:83]
	v_mul_f64 v[205:206], v[163:164], s[18:19]
	s_delay_alu instid0(VALU_DEP_3) | instskip(NEXT) | instid1(VALU_DEP_2)
	v_add_f64 v[90:91], v[90:91], v[88:89]
	v_fma_f64 v[94:95], v[165:166], s[6:7], v[205:206]
	v_fma_f64 v[207:208], v[165:166], s[6:7], -v[205:206]
	s_delay_alu instid0(VALU_DEP_2) | instskip(SKIP_2) | instid1(VALU_DEP_4)
	v_add_f64 v[88:89], v[94:95], v[92:93]
	v_fma_f64 v[92:93], v[0:1], s[36:37], v[169:170]
	v_fma_f64 v[94:95], v[129:130], s[10:11], v[171:172]
	v_add_f64 v[80:81], v[207:208], v[80:81]
	s_delay_alu instid0(VALU_DEP_3) | instskip(NEXT) | instid1(VALU_DEP_3)
	v_add_f64 v[92:93], v[92:93], v[122:123]
	v_add_f64 v[94:95], v[94:95], v[96:97]
	v_fma_f64 v[96:97], v[133:134], s[38:39], v[173:174]
	v_mul_f64 v[122:123], v[147:148], s[6:7]
	s_delay_alu instid0(VALU_DEP_2) | instskip(SKIP_1) | instid1(VALU_DEP_1)
	v_add_f64 v[92:93], v[96:97], v[92:93]
	v_fma_f64 v[96:97], v[137:138], s[2:3], v[175:176]
	v_add_f64 v[94:95], v[96:97], v[94:95]
	v_fma_f64 v[96:97], v[141:142], s[18:19], v[177:178]
	s_delay_alu instid0(VALU_DEP_1) | instskip(SKIP_1) | instid1(VALU_DEP_1)
	v_add_f64 v[92:93], v[96:97], v[92:93]
	v_fma_f64 v[96:97], v[145:146], s[6:7], v[179:180]
	v_add_f64 v[94:95], v[96:97], v[94:95]
	v_fma_f64 v[96:97], v[149:150], s[22:23], v[181:182]
	s_delay_alu instid0(VALU_DEP_1) | instskip(SKIP_1) | instid1(VALU_DEP_1)
	v_add_f64 v[92:93], v[96:97], v[92:93]
	v_fma_f64 v[96:97], v[153:154], s[12:13], v[183:184]
	v_add_f64 v[96:97], v[96:97], v[94:95]
	v_fma_f64 v[94:95], v[159:160], s[26:27], v[185:186]
	s_delay_alu instid0(VALU_DEP_1) | instskip(NEXT) | instid1(VALU_DEP_3)
	v_add_f64 v[94:95], v[94:95], v[92:93]
	v_add_f64 v[92:93], v[100:101], v[96:97]
	v_mul_f64 v[100:101], v[125:126], s[14:15]
	v_mul_f64 v[125:126], v[151:152], s[18:19]
	s_delay_alu instid0(VALU_DEP_2) | instskip(SKIP_1) | instid1(VALU_DEP_2)
	v_fma_f64 v[96:97], v[0:1], s[24:25], v[100:101]
	v_fma_f64 v[0:1], v[0:1], s[40:41], v[100:101]
	v_add_f64 v[2:3], v[96:97], v[2:3]
	v_fma_f64 v[96:97], v[129:130], s[14:15], -v[102:103]
	s_delay_alu instid0(VALU_DEP_3) | instskip(NEXT) | instid1(VALU_DEP_2)
	v_add_f64 v[0:1], v[0:1], v[48:49]
	v_add_f64 v[96:97], v[96:97], v[98:99]
	v_fma_f64 v[98:99], v[133:134], s[22:23], v[111:112]
	s_delay_alu instid0(VALU_DEP_1) | instskip(SKIP_1) | instid1(VALU_DEP_1)
	v_add_f64 v[2:3], v[98:99], v[2:3]
	v_fma_f64 v[98:99], v[137:138], s[12:13], -v[113:114]
	v_add_f64 v[96:97], v[98:99], v[96:97]
	v_fma_f64 v[98:99], v[141:142], s[20:21], v[118:119]
	s_delay_alu instid0(VALU_DEP_1) | instskip(SKIP_1) | instid1(VALU_DEP_1)
	v_add_f64 v[2:3], v[98:99], v[2:3]
	v_fma_f64 v[98:99], v[145:146], s[10:11], -v[120:121]
	;; [unrolled: 5-line block ×4, first 2 shown]
	v_add_f64 v[96:97], v[2:3], v[96:97]
	v_add_f64 v[2:3], v[44:45], v[52:53]
	;; [unrolled: 1-line block ×3, first 2 shown]
	s_delay_alu instid0(VALU_DEP_2) | instskip(NEXT) | instid1(VALU_DEP_2)
	v_add_f64 v[2:3], v[2:3], v[40:41]
	v_add_f64 v[40:41], v[44:45], v[42:43]
	s_delay_alu instid0(VALU_DEP_2) | instskip(NEXT) | instid1(VALU_DEP_2)
	v_add_f64 v[2:3], v[2:3], v[18:19]
	v_add_f64 v[18:19], v[40:41], v[38:39]
	;; [unrolled: 3-line block ×5, first 2 shown]
	v_fma_f64 v[14:15], v[145:146], s[10:11], v[120:121]
	s_delay_alu instid0(VALU_DEP_3) | instskip(NEXT) | instid1(VALU_DEP_3)
	v_add_f64 v[2:3], v[2:3], v[32:33]
	v_add_f64 v[12:13], v[12:13], v[16:17]
	s_delay_alu instid0(VALU_DEP_2) | instskip(NEXT) | instid1(VALU_DEP_2)
	v_add_f64 v[2:3], v[2:3], v[8:9]
	v_add_f64 v[8:9], v[12:13], v[10:11]
	v_fma_f64 v[12:13], v[141:142], s[36:37], v[118:119]
	v_fma_f64 v[10:11], v[137:138], s[12:13], v[113:114]
	s_delay_alu instid0(VALU_DEP_4) | instskip(NEXT) | instid1(VALU_DEP_4)
	v_add_f64 v[2:3], v[2:3], v[24:25]
	v_add_f64 v[8:9], v[8:9], v[20:21]
	s_delay_alu instid0(VALU_DEP_2) | instskip(NEXT) | instid1(VALU_DEP_2)
	v_add_f64 v[2:3], v[2:3], v[4:5]
	v_add_f64 v[6:7], v[8:9], v[6:7]
	v_fma_f64 v[8:9], v[133:134], s[34:35], v[111:112]
	s_delay_alu instid0(VALU_DEP_3) | instskip(NEXT) | instid1(VALU_DEP_3)
	v_add_f64 v[4:5], v[2:3], v[22:23]
	v_add_f64 v[2:3], v[6:7], v[26:27]
	s_delay_alu instid0(VALU_DEP_3) | instskip(SKIP_2) | instid1(VALU_DEP_3)
	v_add_f64 v[0:1], v[8:9], v[0:1]
	v_fma_f64 v[8:9], v[149:150], s[30:31], v[122:123]
	v_fma_f64 v[6:7], v[129:130], s[14:15], v[102:103]
	v_add_f64 v[0:1], v[12:13], v[0:1]
	v_fma_f64 v[12:13], v[159:160], s[38:39], v[127:128]
	s_delay_alu instid0(VALU_DEP_3) | instskip(NEXT) | instid1(VALU_DEP_3)
	v_add_f64 v[6:7], v[6:7], v[50:51]
	v_add_f64 v[0:1], v[8:9], v[0:1]
	s_delay_alu instid0(VALU_DEP_2) | instskip(SKIP_1) | instid1(VALU_DEP_3)
	v_add_f64 v[6:7], v[10:11], v[6:7]
	v_fma_f64 v[10:11], v[153:154], s[6:7], v[125:126]
	v_add_f64 v[8:9], v[12:13], v[0:1]
	scratch_load_b64 v[0:1], off, off offset:8 ; 8-byte Folded Reload
	v_add_f64 v[6:7], v[14:15], v[6:7]
	v_fma_f64 v[14:15], v[165:166], s[2:3], v[131:132]
	s_delay_alu instid0(VALU_DEP_2) | instskip(NEXT) | instid1(VALU_DEP_1)
	v_add_f64 v[6:7], v[10:11], v[6:7]
	v_add_f64 v[6:7], v[14:15], v[6:7]
	s_waitcnt vmcnt(0)
	v_lshrrev_b32_e32 v0, 2, v0
	s_delay_alu instid0(VALU_DEP_1) | instskip(NEXT) | instid1(VALU_DEP_1)
	v_mul_lo_u32 v0, v0, 52
	v_or_b32_e32 v0, v0, v117
	s_delay_alu instid0(VALU_DEP_1)
	v_lshl_add_u32 v0, v0, 4, 0
	ds_store_b128 v0, v[76:79] offset:128
	ds_store_b128 v0, v[80:83] offset:192
	ds_store_b128 v0, v[84:87] offset:256
	ds_store_b128 v0, v[68:71] offset:320
	ds_store_b128 v0, v[60:63] offset:384
	ds_store_b128 v0, v[56:59] offset:448
	ds_store_b128 v0, v[64:67] offset:512
	ds_store_b128 v0, v[72:75] offset:576
	ds_store_b128 v0, v[88:91] offset:640
	ds_store_b128 v0, v[92:95] offset:704
	ds_store_b128 v0, v[96:99] offset:64
	ds_store_b128 v0, v[2:5]
	ds_store_b128 v0, v[6:9] offset:768
.LBB0_17:
	s_or_b32 exec_lo, exec_lo, s1
	s_waitcnt lgkmcnt(0)
	s_barrier
	buffer_gl0_inv
	s_clause 0x4
	scratch_load_b64 v[135:136], off, off offset:80
	scratch_load_b64 v[137:138], off, off offset:88
	scratch_load_b64 v[139:140], off, off offset:96
	scratch_load_b64 v[145:146], off, off offset:104
	scratch_load_b64 v[209:210], off, off offset:32
	v_mov_b32_e32 v117, 0
	s_mov_b32 s2, 0xe8584caa
	s_mov_b32 s3, 0x3febb67a
	s_mov_b32 s7, 0xbfebb67a
	s_mov_b32 s6, s2
	s_add_u32 s1, s4, 0x4de0
	s_waitcnt vmcnt(4)
	v_and_b32_e32 v0, 0xff, v135
	s_waitcnt vmcnt(3)
	v_and_b32_e32 v1, 0xff, v137
	s_waitcnt vmcnt(2)
	v_and_b32_e32 v2, 0xffff, v139
	s_waitcnt vmcnt(1)
	v_and_b32_e32 v3, 0xffff, v145
	s_waitcnt vmcnt(0)
	v_and_b32_e32 v4, 0xffff, v209
	v_mul_lo_u16 v0, 0x4f, v0
	v_mul_lo_u16 v1, 0x4f, v1
	v_mul_u32_u24_e32 v146, 0x4ec5, v2
	v_mul_u32_u24_e32 v140, 0x4ec5, v3
	;; [unrolled: 1-line block ×3, first 2 shown]
	v_lshrrev_b16 v0, 12, v0
	v_lshrrev_b16 v1, 12, v1
	v_lshrrev_b32_e32 v2, 20, v146
	v_lshrrev_b32_e32 v3, 20, v140
	;; [unrolled: 1-line block ×3, first 2 shown]
	v_mul_lo_u16 v0, v0, 52
	v_mul_lo_u16 v1, v1, 52
	;; [unrolled: 1-line block ×5, first 2 shown]
	v_sub_nc_u16 v0, v135, v0
	v_sub_nc_u16 v1, v137, v1
	;; [unrolled: 1-line block ×3, first 2 shown]
	v_lshlrev_b64 v[96:97], 4, v[116:117]
	v_sub_nc_u16 v3, v145, v3
	v_and_b32_e32 v0, 0xff, v0
	v_and_b32_e32 v1, 0xff, v1
	v_sub_nc_u16 v4, v209, v4
	v_and_b32_e32 v2, 0xffff, v2
	v_add_co_u32 v98, s0, s4, v96
	v_lshlrev_b32_e32 v113, 4, v0
	v_and_b32_e32 v0, 0xffff, v3
	v_lshlrev_b32_e32 v114, 4, v1
	v_dual_mov_b32 v210, v117 :: v_dual_and_b32 v1, 0xffff, v4
	v_add_co_ci_u32_e64 v99, s0, s5, v97, s0
	v_lshlrev_b32_e32 v115, 4, v2
	v_lshlrev_b32_e32 v136, 4, v0
	s_delay_alu instid0(VALU_DEP_4)
	v_lshlrev_b32_e32 v138, 4, v1
	s_clause 0x3
	global_load_b128 v[16:19], v[98:99], off offset:800
	global_load_b128 v[20:23], v113, s[4:5] offset:800
	global_load_b128 v[24:27], v114, s[4:5] offset:800
	;; [unrolled: 1-line block ×3, first 2 shown]
	scratch_load_b64 v[211:212], off, off offset:40 ; 8-byte Folded Reload
	s_waitcnt vmcnt(0)
	v_mov_b32_e32 v212, v117
	s_clause 0x1
	global_load_b128 v[32:35], v136, s[4:5] offset:800
	global_load_b128 v[36:39], v138, s[4:5] offset:800
	s_clause 0x2
	scratch_load_b64 v[213:214], off, off offset:48
	scratch_load_b64 v[215:216], off, off offset:56
	;; [unrolled: 1-line block ×3, first 2 shown]
	v_and_b32_e32 v0, 0xffff, v124
	v_lshl_add_u32 v220, v135, 4, 0
	v_lshl_add_u32 v219, v139, 4, 0
	;; [unrolled: 1-line block ×3, first 2 shown]
	v_add_nc_u32_e32 v114, 0, v114
	v_mul_u32_u24_e32 v112, 0x4ec5, v0
	s_waitcnt vmcnt(2)
	v_dual_mov_b32 v214, v117 :: v_dual_add_nc_u32 v115, 0, v115
	s_waitcnt vmcnt(1)
	v_mov_b32_e32 v216, v117
	s_waitcnt vmcnt(0)
	v_mov_b32_e32 v218, v117
	v_lshrrev_b32_e32 v4, 20, v112
	s_delay_alu instid0(VALU_DEP_1) | instskip(NEXT) | instid1(VALU_DEP_1)
	v_mul_lo_u16 v4, v4, 52
	v_sub_nc_u16 v4, v124, v4
	s_delay_alu instid0(VALU_DEP_1) | instskip(NEXT) | instid1(VALU_DEP_1)
	v_and_b32_e32 v4, 0xffff, v4
	v_lshlrev_b32_e32 v147, 4, v4
	global_load_b128 v[40:43], v147, s[4:5] offset:800
	v_and_b32_e32 v1, 0xffff, v211
	v_and_b32_e32 v2, 0xffff, v213
	v_and_b32_e32 v0, 0xffff, v215
	v_and_b32_e32 v3, 0xffff, v217
	s_delay_alu instid0(VALU_DEP_4) | instskip(NEXT) | instid1(VALU_DEP_4)
	v_mul_u32_u24_e32 v1, 0x4ec5, v1
	v_mul_u32_u24_e32 v2, 0x4ec5, v2
	s_delay_alu instid0(VALU_DEP_4) | instskip(NEXT) | instid1(VALU_DEP_4)
	v_mul_u32_u24_e32 v0, 0x4ec5, v0
	v_mul_u32_u24_e32 v3, 0x4ec5, v3
	s_delay_alu instid0(VALU_DEP_4) | instskip(NEXT) | instid1(VALU_DEP_4)
	v_lshrrev_b32_e32 v1, 20, v1
	v_lshrrev_b32_e32 v2, 20, v2
	s_delay_alu instid0(VALU_DEP_4) | instskip(NEXT) | instid1(VALU_DEP_4)
	v_lshrrev_b32_e32 v0, 20, v0
	v_lshrrev_b32_e32 v3, 20, v3
	s_delay_alu instid0(VALU_DEP_4) | instskip(NEXT) | instid1(VALU_DEP_4)
	v_mul_lo_u16 v1, v1, 52
	v_mul_lo_u16 v2, v2, 52
	s_delay_alu instid0(VALU_DEP_4) | instskip(NEXT) | instid1(VALU_DEP_4)
	v_mul_lo_u16 v0, v0, 52
	v_mul_lo_u16 v3, v3, 52
	s_delay_alu instid0(VALU_DEP_4) | instskip(NEXT) | instid1(VALU_DEP_4)
	v_sub_nc_u16 v1, v211, v1
	v_sub_nc_u16 v2, v213, v2
	s_delay_alu instid0(VALU_DEP_4) | instskip(NEXT) | instid1(VALU_DEP_4)
	v_sub_nc_u16 v0, v215, v0
	v_sub_nc_u16 v3, v217, v3
	s_delay_alu instid0(VALU_DEP_4) | instskip(NEXT) | instid1(VALU_DEP_4)
	v_and_b32_e32 v1, 0xffff, v1
	v_and_b32_e32 v2, 0xffff, v2
	s_delay_alu instid0(VALU_DEP_4) | instskip(NEXT) | instid1(VALU_DEP_3)
	v_and_b32_e32 v0, 0xffff, v0
	v_lshlrev_b32_e32 v148, 4, v1
	v_and_b32_e32 v1, 0xffff, v3
	s_delay_alu instid0(VALU_DEP_4) | instskip(NEXT) | instid1(VALU_DEP_4)
	v_lshlrev_b32_e32 v149, 4, v2
	v_lshlrev_b32_e32 v150, 4, v0
	global_load_b128 v[44:47], v148, s[4:5] offset:800
	v_lshlrev_b32_e32 v151, 4, v1
	s_clause 0x2
	global_load_b128 v[48:51], v149, s[4:5] offset:800
	global_load_b128 v[52:55], v150, s[4:5] offset:800
	;; [unrolled: 1-line block ×3, first 2 shown]
	ds_load_b128 v[60:63], v243 offset:9984
	ds_load_b128 v[64:67], v243 offset:10816
	;; [unrolled: 1-line block ×12, first 2 shown]
	ds_load_b128 v[12:15], v243
	ds_load_b128 v[8:11], v248
	;; [unrolled: 1-line block ×4, first 2 shown]
	s_waitcnt lgkmcnt(15)
	v_mul_f64 v[122:123], v[62:63], v[18:19]
	v_mul_f64 v[129:130], v[60:61], v[18:19]
	s_waitcnt lgkmcnt(14)
	v_mul_f64 v[131:132], v[66:67], v[18:19]
	v_mul_f64 v[18:19], v[64:65], v[18:19]
	;; [unrolled: 3-line block ×6, first 2 shown]
	s_waitcnt vmcnt(4) lgkmcnt(8)
	v_mul_f64 v[156:157], v[90:91], v[42:43]
	v_mul_f64 v[42:43], v[88:89], v[42:43]
	;; [unrolled: 1-line block ×4, first 2 shown]
	v_fma_f64 v[60:61], v[60:61], v[16:17], -v[122:123]
	v_fma_f64 v[62:63], v[62:63], v[16:17], v[129:130]
	v_fma_f64 v[64:65], v[64:65], v[16:17], -v[131:132]
	v_fma_f64 v[66:67], v[66:67], v[16:17], v[18:19]
	scratch_load_b32 v16, off, off offset:120 ; 4-byte Folded Reload
	v_fma_f64 v[72:73], v[72:73], v[24:25], -v[141:142]
	v_fma_f64 v[74:75], v[74:75], v[24:25], v[26:27]
	v_fma_f64 v[76:77], v[76:77], v[28:29], -v[143:144]
	v_fma_f64 v[78:79], v[78:79], v[28:29], v[30:31]
	v_fma_f64 v[80:81], v[80:81], v[32:33], -v[152:153]
	v_fma_f64 v[82:83], v[82:83], v[32:33], v[34:35]
	v_fma_f64 v[84:85], v[84:85], v[36:37], -v[154:155]
	v_fma_f64 v[86:87], v[86:87], v[36:37], v[38:39]
	v_fma_f64 v[88:89], v[88:89], v[40:41], -v[156:157]
	v_fma_f64 v[90:91], v[90:91], v[40:41], v[42:43]
	ds_load_b128 v[32:35], v219
	ds_load_b128 v[24:27], v208
	v_fma_f64 v[68:69], v[68:69], v[20:21], -v[133:134]
	v_fma_f64 v[70:71], v[70:71], v[20:21], v[22:23]
	s_waitcnt lgkmcnt(5)
	v_add_f64 v[18:19], v[14:15], -v[62:63]
	s_waitcnt lgkmcnt(4)
	v_add_f64 v[20:21], v[8:9], -v[64:65]
	v_add_f64 v[22:23], v[10:11], -v[66:67]
	s_waitcnt lgkmcnt(2)
	v_add_f64 v[62:63], v[2:3], -v[74:75]
	s_waitcnt lgkmcnt(1)
	v_add_f64 v[64:65], v[32:33], -v[76:77]
	v_add_f64 v[66:67], v[34:35], -v[78:79]
	v_fma_f64 v[14:15], v[14:15], 2.0, -v[18:19]
	v_fma_f64 v[8:9], v[8:9], 2.0, -v[20:21]
	;; [unrolled: 1-line block ×6, first 2 shown]
	s_waitcnt vmcnt(4)
	v_mul_f64 v[158:159], v[94:95], v[46:47]
	v_mul_f64 v[46:47], v[92:93], v[46:47]
	s_waitcnt vmcnt(3)
	v_mul_f64 v[160:161], v[102:103], v[50:51]
	v_mul_f64 v[50:51], v[100:101], v[50:51]
	;; [unrolled: 3-line block ×4, first 2 shown]
	v_fma_f64 v[92:93], v[92:93], v[44:45], -v[158:159]
	v_fma_f64 v[94:95], v[94:95], v[44:45], v[46:47]
	v_fma_f64 v[122:123], v[100:101], v[48:49], -v[160:161]
	v_fma_f64 v[129:130], v[102:103], v[48:49], v[50:51]
	;; [unrolled: 2-line block ×4, first 2 shown]
	v_add_f64 v[56:57], v[4:5], -v[68:69]
	v_add_f64 v[58:59], v[6:7], -v[70:71]
	s_waitcnt vmcnt(0)
	v_add_nc_u32_e32 v105, v16, v104
	v_lshl_add_u32 v16, v124, 5, 0
	ds_load_b128 v[48:51], v105
	v_add_nc_u32_e32 v104, v16, v107
	scratch_load_b32 v16, off, off offset:124 ; 4-byte Folded Reload
	s_waitcnt lgkmcnt(1)
	v_add_f64 v[68:69], v[24:25], -v[80:81]
	v_add_f64 v[70:71], v[26:27], -v[82:83]
	s_waitcnt lgkmcnt(0)
	v_add_f64 v[74:75], v[50:51], -v[86:87]
	v_fma_f64 v[4:5], v[4:5], 2.0, -v[56:57]
	v_fma_f64 v[6:7], v[6:7], 2.0, -v[58:59]
	;; [unrolled: 1-line block ×5, first 2 shown]
	s_waitcnt vmcnt(0)
	v_add_nc_u32_e32 v103, v16, v108
	scratch_load_b32 v16, off, off offset:128 ; 4-byte Folded Reload
	s_waitcnt vmcnt(0)
	v_add_nc_u32_e32 v102, v16, v109
	scratch_load_b32 v16, off, off offset:132 ; 4-byte Folded Reload
	;; [unrolled: 3-line block ×3, first 2 shown]
	v_lshrrev_b32_e32 v110, 21, v146
	v_dual_mov_b32 v146, v117 :: v_dual_add_nc_u32 v113, 0, v113
	s_delay_alu instid0(VALU_DEP_2)
	v_mul_lo_u16 v110, 0x68, v110
	s_waitcnt vmcnt(0)
	v_add_nc_u32_e32 v100, v16, v106
	ds_load_b128 v[52:55], v104
	ds_load_b128 v[44:47], v103
	;; [unrolled: 1-line block ×5, first 2 shown]
	s_clause 0x1
	scratch_load_b64 v[106:107], off, off offset:112
	scratch_load_b64 v[108:109], off, off offset:140
	v_add_f64 v[16:17], v[12:13], -v[60:61]
	v_add_f64 v[60:61], v[0:1], -v[72:73]
	;; [unrolled: 1-line block ×3, first 2 shown]
	s_waitcnt vmcnt(1)
	v_mov_b32_e32 v107, v117
	s_waitcnt vmcnt(0) lgkmcnt(0)
	s_barrier
	buffer_gl0_inv
	v_mov_b32_e32 v109, v117
	v_add_f64 v[76:77], v[52:53], -v[88:89]
	v_add_f64 v[78:79], v[54:55], -v[90:91]
	;; [unrolled: 1-line block ×10, first 2 shown]
	v_lshrrev_b32_e32 v118, 21, v140
	v_add_nc_u32_e32 v119, 0, v136
	v_add_nc_u32_e32 v120, 0, v138
	;; [unrolled: 1-line block ×7, first 2 shown]
	v_mov_b32_e32 v136, v117
	v_mov_b32_e32 v138, v117
	;; [unrolled: 1-line block ×3, first 2 shown]
	v_fma_f64 v[12:13], v[12:13], 2.0, -v[16:17]
	v_fma_f64 v[0:1], v[0:1], 2.0, -v[60:61]
	;; [unrolled: 1-line block ×13, first 2 shown]
	ds_store_b128 v243, v[12:15]
	ds_store_b128 v243, v[16:19] offset:832
	ds_store_b128 v243, v[8:11] offset:1664
	;; [unrolled: 1-line block ×23, first 2 shown]
	v_lshrrev_b32_e32 v16, 21, v111
	v_sub_nc_u16 v18, v139, v110
	v_lshrrev_b32_e32 v19, 21, v112
	v_mul_lo_u16 v17, 0x68, v118
	s_waitcnt lgkmcnt(0)
	v_mul_lo_u16 v16, 0x68, v16
	v_and_b32_e32 v68, 0xffff, v18
	v_mul_lo_u16 v18, 0x68, v19
	v_sub_nc_u16 v17, v145, v17
	s_barrier
	v_sub_nc_u16 v16, v209, v16
	buffer_gl0_inv
	v_sub_nc_u16 v18, v124, v18
	v_and_b32_e32 v69, 0xffff, v17
	v_lshlrev_b32_e32 v17, 5, v68
	v_and_b32_e32 v70, 0xffff, v16
	v_lshlrev_b64 v[54:55], 4, v[135:136]
	v_and_b32_e32 v71, 0xffff, v18
	v_lshlrev_b32_e32 v16, 5, v69
	v_lshlrev_b64 v[52:53], 4, v[137:138]
	v_lshlrev_b64 v[50:51], 4, v[139:140]
	v_lshl_add_u32 v68, v68, 4, 0
	v_lshlrev_b32_e32 v40, 5, v71
	v_lshl_add_u32 v69, v69, 4, 0
	v_lshl_add_u32 v71, v71, 4, 0
	v_lshlrev_b64 v[106:107], 4, v[106:107]
	v_lshlrev_b64 v[108:109], 4, v[108:109]
	s_delay_alu instid0(VALU_DEP_2) | instskip(NEXT) | instid1(VALU_DEP_1)
	v_add_co_u32 v106, s0, s4, v106
	v_add_co_ci_u32_e64 v107, s0, s5, v107, s0
	s_delay_alu instid0(VALU_DEP_3) | instskip(NEXT) | instid1(VALU_DEP_1)
	v_add_co_u32 v12, s0, s4, v108
	v_add_co_ci_u32_e64 v13, s0, s5, v109, s0
	s_clause 0x5
	global_load_b128 v[0:3], v[106:107], off offset:1648
	global_load_b128 v[4:7], v[106:107], off offset:1632
	;; [unrolled: 1-line block ×4, first 2 shown]
	global_load_b128 v[32:35], v17, s[4:5] offset:1632
	global_load_b128 v[20:23], v17, s[4:5] offset:1648
	v_lshlrev_b32_e32 v17, 5, v70
	s_clause 0x5
	global_load_b128 v[36:39], v16, s[4:5] offset:1632
	global_load_b128 v[24:27], v16, s[4:5] offset:1648
	;; [unrolled: 1-line block ×6, first 2 shown]
	scratch_load_b64 v[48:49], off, off offset:8 ; 8-byte Folded Reload
	ds_load_b128 v[72:75], v103
	ds_load_b128 v[76:79], v243 offset:13312
	ds_load_b128 v[80:83], v243
	ds_load_b128 v[84:87], v243 offset:7488
	ds_load_b128 v[88:91], v243 offset:14144
	s_waitcnt vmcnt(0)
	v_mov_b32_e32 v49, v117
	ds_load_b128 v[92:95], v243 offset:8320
	ds_load_b128 v[106:109], v243 offset:9152
	ds_load_b128 v[110:113], v243 offset:14976
	ds_load_b128 v[118:121], v243 offset:15808
	ds_load_b128 v[125:128], v243 offset:9984
	ds_load_b128 v[129:132], v243 offset:10816
	ds_load_b128 v[134:137], v104
	v_add_co_u32 v114, s0, 0x1000, v98
	s_delay_alu instid0(VALU_DEP_1)
	v_add_co_ci_u32_e64 v115, s0, 0, v99, s0
	v_lshl_add_u32 v70, v70, 4, 0
	s_waitcnt lgkmcnt(10)
	v_mul_f64 v[166:167], v[78:79], v[2:3]
	v_mul_f64 v[142:143], v[74:75], v[6:7]
	;; [unrolled: 1-line block ×4, first 2 shown]
	s_waitcnt lgkmcnt(8)
	v_mul_f64 v[170:171], v[86:87], v[14:15]
	v_mul_f64 v[172:173], v[84:85], v[14:15]
	s_waitcnt lgkmcnt(7)
	v_mul_f64 v[174:175], v[90:91], v[10:11]
	v_mul_f64 v[176:177], v[88:89], v[10:11]
	;; [unrolled: 3-line block ×4, first 2 shown]
	v_lshlrev_b64 v[56:57], 4, v[48:49]
	v_lshlrev_b64 v[48:49], 4, v[145:146]
	ds_load_b128 v[138:141], v243 offset:16640
	ds_load_b128 v[144:147], v243 offset:17472
	;; [unrolled: 1-line block ×6, first 2 shown]
	v_mul_f64 v[182:183], v[108:109], v[14:15]
	v_mul_f64 v[14:15], v[106:107], v[14:15]
	s_waitcnt lgkmcnt(9)
	v_mul_f64 v[184:185], v[120:121], v[10:11]
	v_mul_f64 v[10:11], v[118:119], v[10:11]
	s_waitcnt lgkmcnt(8)
	;; [unrolled: 3-line block ×3, first 2 shown]
	v_mul_f64 v[190:191], v[131:132], v[38:39]
	v_mul_f64 v[38:39], v[129:130], v[38:39]
	v_add_co_u32 v66, s0, s4, v56
	s_delay_alu instid0(VALU_DEP_1) | instskip(SKIP_1) | instid1(VALU_DEP_1)
	v_add_co_ci_u32_e64 v67, s0, s5, v57, s0
	v_add_co_u32 v58, s0, s4, v54
	v_add_co_ci_u32_e64 v59, s0, s5, v55, s0
	s_waitcnt lgkmcnt(5)
	v_mul_f64 v[188:189], v[140:141], v[22:23]
	v_mul_f64 v[22:23], v[138:139], v[22:23]
	s_waitcnt lgkmcnt(4)
	v_mul_f64 v[192:193], v[146:147], v[26:27]
	v_mul_f64 v[26:27], v[144:145], v[26:27]
	;; [unrolled: 3-line block ×4, first 2 shown]
	v_mul_f64 v[198:199], v[154:155], v[46:47]
	v_mul_f64 v[46:47], v[152:153], v[46:47]
	s_waitcnt lgkmcnt(0)
	v_mul_f64 v[200:201], v[162:163], v[42:43]
	v_mul_f64 v[42:43], v[160:161], v[42:43]
	v_fma_f64 v[142:143], v[72:73], v[4:5], -v[142:143]
	v_fma_f64 v[164:165], v[74:75], v[4:5], v[164:165]
	v_fma_f64 v[166:167], v[76:77], v[0:1], -v[166:167]
	v_fma_f64 v[168:169], v[78:79], v[0:1], v[168:169]
	;; [unrolled: 2-line block ×9, first 2 shown]
	ds_load_b128 v[72:75], v248
	ds_load_b128 v[76:79], v220
	;; [unrolled: 1-line block ×6, first 2 shown]
	v_add_co_u32 v60, s0, s4, v52
	s_delay_alu instid0(VALU_DEP_1)
	v_add_co_ci_u32_e64 v61, s0, s5, v53, s0
	v_add_co_u32 v62, s0, s4, v50
	v_fma_f64 v[34:35], v[138:139], v[20:21], -v[188:189]
	v_fma_f64 v[20:21], v[140:141], v[20:21], v[22:23]
	v_fma_f64 v[22:23], v[129:130], v[36:37], -v[190:191]
	v_fma_f64 v[36:37], v[131:132], v[36:37], v[38:39]
	;; [unrolled: 2-line block ×7, first 2 shown]
	v_add_f64 v[46:47], v[142:143], v[166:167]
	v_add_f64 v[138:139], v[164:165], v[168:169]
	;; [unrolled: 1-line block ×3, first 2 shown]
	s_waitcnt lgkmcnt(5)
	v_add_f64 v[148:149], v[74:75], v[86:87]
	v_add_f64 v[144:145], v[84:85], v[88:89]
	v_add_f64 v[146:147], v[86:87], -v[90:91]
	v_add_f64 v[86:87], v[86:87], v[90:91]
	v_add_f64 v[131:132], v[82:83], v[164:165]
	;; [unrolled: 1-line block ×4, first 2 shown]
	v_add_f64 v[140:141], v[142:143], -v[166:167]
	v_add_f64 v[142:143], v[72:73], v[84:85]
	v_add_f64 v[158:159], v[106:107], v[118:119]
	v_add_f64 v[160:161], v[108:109], v[120:121]
	s_waitcnt lgkmcnt(4)
	v_add_f64 v[152:153], v[76:77], v[92:93]
	v_add_f64 v[129:130], v[164:165], -v[168:169]
	s_waitcnt lgkmcnt(2)
	v_add_f64 v[180:181], v[4:5], v[125:126]
	v_add_f64 v[84:85], v[84:85], -v[88:89]
	v_add_f64 v[156:157], v[94:95], -v[112:113]
	v_add_f64 v[94:95], v[78:79], v[94:95]
	v_add_f64 v[92:93], v[92:93], -v[110:111]
	v_add_f64 v[164:165], v[0:1], v[106:107]
	;; [unrolled: 2-line block ×3, first 2 shown]
	v_add_f64 v[162:163], v[125:126], v[34:35]
	v_add_f64 v[170:171], v[32:33], v[20:21]
	v_add_f64 v[184:185], v[32:33], -v[20:21]
	v_add_f64 v[32:33], v[6:7], v[32:33]
	v_add_f64 v[174:175], v[22:23], v[38:39]
	;; [unrolled: 1-line block ×3, first 2 shown]
	s_waitcnt lgkmcnt(1)
	v_add_f64 v[190:191], v[8:9], v[22:23]
	v_add_f64 v[192:193], v[10:11], v[36:37]
	;; [unrolled: 1-line block ×4, first 2 shown]
	s_waitcnt lgkmcnt(0)
	v_add_f64 v[194:195], v[12:13], v[26:27]
	v_add_f64 v[200:201], v[136:137], v[18:19]
	v_add_f64 v[186:187], v[16:17], v[44:45]
	v_add_f64 v[188:189], v[18:19], v[40:41]
	v_fma_f64 v[46:47], v[46:47], -0.5, v[80:81]
	v_fma_f64 v[80:81], v[138:139], -0.5, v[82:83]
	v_add_f64 v[198:199], v[134:135], v[16:17]
	v_add_f64 v[106:107], v[106:107], -v[118:119]
	v_fma_f64 v[72:73], v[144:145], -0.5, v[72:73]
	v_add_f64 v[125:126], v[125:126], -v[34:35]
	v_fma_f64 v[74:75], v[86:87], -0.5, v[74:75]
	;; [unrolled: 2-line block ×3, first 2 shown]
	v_fma_f64 v[78:79], v[154:155], -0.5, v[78:79]
	v_add_f64 v[138:139], v[22:23], -v[38:39]
	v_add_f64 v[196:197], v[14:15], v[28:29]
	v_fma_f64 v[82:83], v[158:159], -0.5, v[0:1]
	v_fma_f64 v[86:87], v[160:161], -0.5, v[2:3]
	v_add_f64 v[2:3], v[131:132], v[168:169]
	v_add_f64 v[144:145], v[28:29], -v[127:128]
	v_add_f64 v[206:207], v[26:27], -v[30:31]
	;; [unrolled: 1-line block ×4, first 2 shown]
	v_add_f64 v[0:1], v[42:43], v[166:167]
	v_add_f64 v[16:17], v[180:181], v[34:35]
	v_add_co_ci_u32_e64 v63, s0, s5, v51, s0
	v_add_co_u32 v64, s0, s4, v48
	v_fma_f64 v[131:132], v[162:163], -0.5, v[4:5]
	v_add_f64 v[4:5], v[142:143], v[88:89]
	v_fma_f64 v[142:143], v[170:171], -0.5, v[6:7]
	v_add_f64 v[6:7], v[148:149], v[90:91]
	v_fma_f64 v[148:149], v[174:175], -0.5, v[8:9]
	v_add_f64 v[8:9], v[152:153], v[110:111]
	v_fma_f64 v[152:153], v[176:177], -0.5, v[10:11]
	v_fma_f64 v[158:159], v[178:179], -0.5, v[12:13]
	;; [unrolled: 1-line block ×3, first 2 shown]
	v_add_f64 v[18:19], v[32:33], v[20:21]
	v_add_f64 v[20:21], v[190:191], v[38:39]
	v_fma_f64 v[133:134], v[186:187], -0.5, v[134:135]
	v_fma_f64 v[136:137], v[188:189], -0.5, v[136:137]
	v_fma_f64 v[32:33], v[129:130], s[2:3], v[46:47]
	v_fma_f64 v[34:35], v[140:141], s[6:7], v[80:81]
	;; [unrolled: 1-line block ×4, first 2 shown]
	v_add_f64 v[22:23], v[192:193], v[24:25]
	v_add_f64 v[24:25], v[194:195], v[30:31]
	;; [unrolled: 1-line block ×3, first 2 shown]
	v_fma_f64 v[40:41], v[146:147], s[2:3], v[72:73]
	v_fma_f64 v[42:43], v[84:85], s[6:7], v[74:75]
	v_add_f64 v[28:29], v[198:199], v[44:45]
	v_fma_f64 v[44:45], v[146:147], s[6:7], v[72:73]
	v_fma_f64 v[46:47], v[84:85], s[2:3], v[74:75]
	v_add_f64 v[10:11], v[94:95], v[112:113]
	v_fma_f64 v[72:73], v[156:157], s[2:3], v[76:77]
	v_fma_f64 v[74:75], v[92:93], s[6:7], v[78:79]
	;; [unrolled: 1-line block ×4, first 2 shown]
	v_add_f64 v[12:13], v[164:165], v[118:119]
	v_add_f64 v[14:15], v[108:109], v[120:121]
	v_fma_f64 v[80:81], v[172:173], s[2:3], v[82:83]
	v_fma_f64 v[84:85], v[172:173], s[6:7], v[82:83]
	;; [unrolled: 1-line block ×4, first 2 shown]
	v_add_f64 v[26:27], v[196:197], v[127:128]
	v_add_co_ci_u32_e64 v65, s0, s5, v49, s0
	v_fma_f64 v[88:89], v[184:185], s[2:3], v[131:132]
	v_fma_f64 v[90:91], v[125:126], s[6:7], v[142:143]
	;; [unrolled: 1-line block ×16, first 2 shown]
	v_add_co_u32 v122, s0, 0x1000, v66
	s_delay_alu instid0(VALU_DEP_1) | instskip(SKIP_1) | instid1(VALU_DEP_1)
	v_add_co_ci_u32_e64 v123, s0, 0, v67, s0
	v_add_co_u32 v202, s0, 0x1000, v58
	v_add_co_ci_u32_e64 v203, s0, 0, v59, s0
	v_add_co_u32 v138, s0, 0x1000, v60
	s_delay_alu instid0(VALU_DEP_1) | instskip(SKIP_1) | instid1(VALU_DEP_1)
	v_add_co_ci_u32_e64 v139, s0, 0, v61, s0
	v_add_co_u32 v140, s0, 0x1000, v62
	v_add_co_ci_u32_e64 v141, s0, 0, v63, s0
	s_barrier
	buffer_gl0_inv
	ds_store_b128 v243, v[0:3]
	ds_store_b128 v243, v[32:35] offset:1664
	ds_store_b128 v243, v[36:39] offset:3328
	ds_store_b128 v248, v[4:7]
	ds_store_b128 v248, v[40:43] offset:1664
	ds_store_b128 v248, v[44:47] offset:3328
	;; [unrolled: 1-line block ×20, first 2 shown]
	s_waitcnt lgkmcnt(0)
	s_barrier
	buffer_gl0_inv
	s_clause 0x2
	global_load_b128 v[20:23], v[114:115], off offset:864
	global_load_b128 v[8:11], v[122:123], off offset:864
	global_load_b128 v[0:3], v[202:203], off offset:864
	v_add_co_u32 v16, s0, 0x1000, v64
	s_delay_alu instid0(VALU_DEP_1)
	v_add_co_ci_u32_e64 v17, s0, 0, v65, s0
	s_clause 0x2
	global_load_b128 v[12:15], v[138:139], off offset:864
	global_load_b128 v[4:7], v[140:141], off offset:864
	;; [unrolled: 1-line block ×3, first 2 shown]
	ds_load_b128 v[36:39], v243
	ds_load_b128 v[40:43], v243 offset:9984
	ds_load_b128 v[44:47], v243 offset:10816
	;; [unrolled: 1-line block ×7, first 2 shown]
	v_mov_b32_e32 v125, v117
	v_lshlrev_b64 v[34:35], 4, v[209:210]
	v_add_co_u32 v98, s0, 0x2000, v98
	s_delay_alu instid0(VALU_DEP_1) | instskip(NEXT) | instid1(VALU_DEP_4)
	v_add_co_ci_u32_e64 v99, s0, 0, v99, s0
	v_lshlrev_b64 v[32:33], 4, v[124:125]
	ds_load_b128 v[88:91], v243 offset:15808
	ds_load_b128 v[92:95], v243 offset:16640
	;; [unrolled: 1-line block ×4, first 2 shown]
	ds_load_b128 v[117:120], v248
	ds_load_b128 v[121:124], v243 offset:19136
	v_lshlrev_b64 v[30:31], 4, v[211:212]
	v_add_co_u32 v179, s0, s4, v34
	s_delay_alu instid0(VALU_DEP_1) | instskip(SKIP_2) | instid1(VALU_DEP_1)
	v_add_co_ci_u32_e64 v180, s0, s5, v35, s0
	v_lshlrev_b64 v[28:29], 4, v[213:214]
	v_add_co_u32 v181, s0, s4, v32
	v_add_co_ci_u32_e64 v182, s0, s5, v33, s0
	ds_load_b128 v[125:128], v220
	ds_load_b128 v[129:132], v255
	v_lshlrev_b64 v[26:27], 4, v[215:216]
	v_add_co_u32 v183, s0, s4, v30
	s_delay_alu instid0(VALU_DEP_1) | instskip(SKIP_2) | instid1(VALU_DEP_1)
	v_add_co_ci_u32_e64 v184, s0, s5, v31, s0
	v_lshlrev_b64 v[24:25], 4, v[217:218]
	v_add_co_u32 v185, s0, s4, v28
	v_add_co_ci_u32_e64 v186, s0, s5, v29, s0
	v_add_co_u32 v187, s0, s4, v26
	s_delay_alu instid0(VALU_DEP_1) | instskip(SKIP_1) | instid1(VALU_DEP_1)
	v_add_co_ci_u32_e64 v188, s0, s5, v27, s0
	v_add_co_u32 v189, s0, s4, v24
	v_add_co_ci_u32_e64 v190, s0, s5, v25, s0
	v_add_co_u32 v177, s0, 0x2000, v66
	s_delay_alu instid0(VALU_DEP_1)
	v_add_co_ci_u32_e64 v178, s0, 0, v67, s0
	s_addc_u32 s2, s5, 0
	s_mov_b32 s3, exec_lo
	s_waitcnt vmcnt(5) lgkmcnt(14)
	v_mul_f64 v[114:115], v[42:43], v[22:23]
	v_mul_f64 v[133:134], v[40:41], v[22:23]
	s_waitcnt vmcnt(4) lgkmcnt(13)
	v_mul_f64 v[135:136], v[46:47], v[10:11]
	v_mul_f64 v[137:138], v[44:45], v[10:11]
	;; [unrolled: 3-line block ×6, first 2 shown]
	s_waitcnt lgkmcnt(8)
	v_mul_f64 v[155:156], v[86:87], v[22:23]
	v_mul_f64 v[22:23], v[84:85], v[22:23]
	s_waitcnt lgkmcnt(7)
	v_mul_f64 v[157:158], v[90:91], v[10:11]
	v_mul_f64 v[10:11], v[88:89], v[10:11]
	s_waitcnt lgkmcnt(6)
	v_mul_f64 v[159:160], v[94:95], v[2:3]
	v_mul_f64 v[2:3], v[92:93], v[2:3]
	s_waitcnt lgkmcnt(5)
	v_mul_f64 v[161:162], v[108:109], v[14:15]
	v_mul_f64 v[14:15], v[106:107], v[14:15]
	s_waitcnt lgkmcnt(4)
	v_mul_f64 v[163:164], v[112:113], v[6:7]
	v_mul_f64 v[6:7], v[110:111], v[6:7]
	s_waitcnt lgkmcnt(2)
	v_mul_f64 v[165:166], v[123:124], v[18:19]
	v_mul_f64 v[18:19], v[121:122], v[18:19]
	v_fma_f64 v[114:115], v[40:41], v[20:21], -v[114:115]
	v_fma_f64 v[133:134], v[42:43], v[20:21], v[133:134]
	v_fma_f64 v[135:136], v[44:45], v[8:9], -v[135:136]
	v_fma_f64 v[137:138], v[46:47], v[8:9], v[137:138]
	;; [unrolled: 2-line block ×12, first 2 shown]
	ds_load_b128 v[0:3], v219
	ds_load_b128 v[4:7], v208
	;; [unrolled: 1-line block ×8, first 2 shown]
	s_waitcnt lgkmcnt(0)
	s_barrier
	buffer_gl0_inv
	v_add_f64 v[66:67], v[36:37], -v[114:115]
	v_add_f64 v[68:69], v[38:39], -v[133:134]
	;; [unrolled: 1-line block ×24, first 2 shown]
	v_add_co_u32 v94, s0, 0x2000, v58
	s_delay_alu instid0(VALU_DEP_1) | instskip(SKIP_1) | instid1(VALU_DEP_1)
	v_add_co_ci_u32_e64 v95, s0, 0, v59, s0
	v_add_co_u32 v114, s0, 0x2000, v60
	v_add_co_ci_u32_e64 v115, s0, 0, v61, s0
	v_add_co_u32 v141, s0, 0x2000, v62
	s_delay_alu instid0(VALU_DEP_1)
	v_add_co_ci_u32_e64 v142, s0, 0, v63, s0
	v_add_co_u32 v143, s0, 0x2000, v64
	v_fma_f64 v[36:37], v[36:37], 2.0, -v[66:67]
	v_fma_f64 v[38:39], v[38:39], 2.0, -v[68:69]
	;; [unrolled: 1-line block ×4, first 2 shown]
	v_add_co_ci_u32_e64 v144, s0, 0, v65, s0
	v_fma_f64 v[62:63], v[125:126], 2.0, -v[74:75]
	v_fma_f64 v[64:65], v[127:128], 2.0, -v[76:77]
	;; [unrolled: 1-line block ×20, first 2 shown]
	v_add_co_u32 v125, s0, 0x2000, v179
	ds_store_b128 v243, v[36:39]
	ds_store_b128 v243, v[66:69] offset:4992
	ds_store_b128 v248, v[58:61]
	ds_store_b128 v248, v[70:73] offset:4992
	;; [unrolled: 2-line block ×6, first 2 shown]
	ds_store_b128 v243, v[8:11] offset:9984
	ds_store_b128 v243, v[90:93] offset:14976
	;; [unrolled: 1-line block ×12, first 2 shown]
	s_waitcnt lgkmcnt(0)
	s_barrier
	buffer_gl0_inv
	global_load_b128 v[0:3], v[98:99], off offset:1760
	v_add_co_ci_u32_e64 v126, s0, 0, v180, s0
	v_add_co_u32 v127, s0, 0x2000, v181
	s_delay_alu instid0(VALU_DEP_1)
	v_add_co_ci_u32_e64 v128, s0, 0, v182, s0
	s_clause 0x3
	global_load_b128 v[4:7], v[177:178], off offset:1760
	global_load_b128 v[8:11], v[94:95], off offset:1760
	;; [unrolled: 1-line block ×4, first 2 shown]
	v_add_co_u32 v129, s0, 0x2000, v183
	s_delay_alu instid0(VALU_DEP_1) | instskip(SKIP_1) | instid1(VALU_DEP_1)
	v_add_co_ci_u32_e64 v130, s0, 0, v184, s0
	v_add_co_u32 v58, s0, 0x2000, v185
	v_add_co_ci_u32_e64 v59, s0, 0, v186, s0
	v_add_co_u32 v62, s0, 0x2000, v187
	s_clause 0x3
	global_load_b128 v[20:23], v[143:144], off offset:1760
	global_load_b128 v[36:39], v[125:126], off offset:1760
	;; [unrolled: 1-line block ×4, first 2 shown]
	v_add_co_ci_u32_e64 v63, s0, 0, v188, s0
	v_add_co_u32 v66, s0, 0x2000, v189
	s_delay_alu instid0(VALU_DEP_1)
	v_add_co_ci_u32_e64 v67, s0, 0, v190, s0
	s_clause 0x2
	global_load_b128 v[58:61], v[58:59], off offset:1760
	global_load_b128 v[62:65], v[62:63], off offset:1760
	;; [unrolled: 1-line block ×3, first 2 shown]
	ds_load_b128 v[70:73], v243 offset:9984
	ds_load_b128 v[74:77], v243 offset:10816
	;; [unrolled: 1-line block ×12, first 2 shown]
	ds_load_b128 v[133:136], v243
	ds_load_b128 v[137:140], v248
	s_waitcnt vmcnt(11) lgkmcnt(13)
	v_mul_f64 v[94:95], v[72:73], v[2:3]
	v_mul_f64 v[2:3], v[70:71], v[2:3]
	s_waitcnt vmcnt(10) lgkmcnt(12)
	v_mul_f64 v[98:99], v[76:77], v[6:7]
	v_mul_f64 v[6:7], v[74:75], v[6:7]
	;; [unrolled: 3-line block ×12, first 2 shown]
	v_fma_f64 v[70:71], v[70:71], v[0:1], -v[94:95]
	v_fma_f64 v[72:73], v[72:73], v[0:1], v[2:3]
	ds_load_b128 v[0:3], v220
	v_fma_f64 v[74:75], v[74:75], v[4:5], -v[98:99]
	v_fma_f64 v[76:77], v[76:77], v[4:5], v[6:7]
	v_fma_f64 v[78:79], v[78:79], v[8:9], -v[114:115]
	v_fma_f64 v[80:81], v[80:81], v[8:9], v[10:11]
	;; [unrolled: 2-line block ×11, first 2 shown]
	ds_load_b128 v[4:7], v255
	ds_load_b128 v[8:11], v219
	;; [unrolled: 1-line block ×9, first 2 shown]
	s_waitcnt lgkmcnt(0)
	s_barrier
	buffer_gl0_inv
	v_add_f64 v[62:63], v[133:134], -v[70:71]
	v_add_f64 v[64:65], v[135:136], -v[72:73]
	;; [unrolled: 1-line block ×24, first 2 shown]
	v_fma_f64 v[125:126], v[133:134], 2.0, -v[62:63]
	v_fma_f64 v[127:128], v[135:136], 2.0, -v[64:65]
	;; [unrolled: 1-line block ×24, first 2 shown]
	ds_store_b128 v243, v[125:128]
	ds_store_b128 v243, v[62:65] offset:9984
	ds_store_b128 v248, v[129:132]
	ds_store_b128 v248, v[66:69] offset:9984
	;; [unrolled: 2-line block ×12, first 2 shown]
	s_waitcnt lgkmcnt(0)
	s_barrier
	buffer_gl0_inv
	scratch_load_b32 v0, off, off offset:24 ; 4-byte Folded Reload
	ds_load_b128 v[8:11], v243
                                        ; implicit-def: $vgpr2_vgpr3
                                        ; implicit-def: $vgpr6_vgpr7
	s_waitcnt vmcnt(0)
	v_sub_nc_u32_e32 v12, 0, v0
	v_cmpx_ne_u32_e32 0, v116
	s_xor_b32 s3, exec_lo, s3
	s_cbranch_execz .LBB0_19
; %bb.18:
	v_add_co_u32 v0, s0, s1, v96
	s_delay_alu instid0(VALU_DEP_1)
	v_add_co_ci_u32_e64 v1, s0, s2, v97, s0
	ds_load_b128 v[13:16], v12 offset:19968
	global_load_b128 v[2:5], v[0:1], off
	s_waitcnt lgkmcnt(0)
	v_add_f64 v[0:1], v[8:9], -v[13:14]
	v_add_f64 v[6:7], v[10:11], v[15:16]
	v_add_f64 v[10:11], v[10:11], -v[15:16]
	s_delay_alu instid0(VALU_DEP_3) | instskip(SKIP_1) | instid1(VALU_DEP_4)
	v_mul_f64 v[15:16], v[0:1], 0.5
	v_add_f64 v[0:1], v[8:9], v[13:14]
	v_mul_f64 v[8:9], v[6:7], 0.5
	s_delay_alu instid0(VALU_DEP_4) | instskip(SKIP_1) | instid1(VALU_DEP_4)
	v_mul_f64 v[6:7], v[10:11], 0.5
	s_waitcnt vmcnt(0)
	v_mul_f64 v[10:11], v[15:16], v[4:5]
	s_delay_alu instid0(VALU_DEP_2) | instskip(NEXT) | instid1(VALU_DEP_2)
	v_fma_f64 v[13:14], v[8:9], v[4:5], v[6:7]
	v_fma_f64 v[17:18], v[0:1], 0.5, v[10:11]
	v_fma_f64 v[0:1], v[0:1], 0.5, -v[10:11]
	v_fma_f64 v[10:11], v[8:9], v[4:5], -v[6:7]
	s_delay_alu instid0(VALU_DEP_4) | instskip(NEXT) | instid1(VALU_DEP_4)
	v_fma_f64 v[6:7], -v[2:3], v[15:16], v[13:14]
	v_fma_f64 v[4:5], v[8:9], v[2:3], v[17:18]
	s_delay_alu instid0(VALU_DEP_4) | instskip(NEXT) | instid1(VALU_DEP_4)
	v_fma_f64 v[0:1], -v[8:9], v[2:3], v[0:1]
	v_fma_f64 v[2:3], -v[2:3], v[15:16], v[10:11]
                                        ; implicit-def: $vgpr8_vgpr9
.LBB0_19:
	s_and_not1_saveexec_b32 s0, s3
	s_cbranch_execz .LBB0_21
; %bb.20:
	s_waitcnt lgkmcnt(0)
	v_add_f64 v[4:5], v[8:9], v[10:11]
	v_add_f64 v[0:1], v[8:9], -v[10:11]
	v_mov_b32_e32 v10, 0
	v_mov_b32_e32 v6, 0
	;; [unrolled: 1-line block ×3, first 2 shown]
	s_delay_alu instid0(VALU_DEP_2)
	v_mov_b32_e32 v2, v6
	ds_load_b64 v[8:9], v10 offset:9992
	v_mov_b32_e32 v3, v7
	s_waitcnt lgkmcnt(0)
	v_xor_b32_e32 v9, 0x80000000, v9
	ds_store_b64 v10, v[8:9] offset:9992
.LBB0_21:
	s_or_b32 exec_lo, exec_lo, s0
	s_waitcnt lgkmcnt(0)
	v_add_co_u32 v8, s0, s1, v56
	s_delay_alu instid0(VALU_DEP_1) | instskip(SKIP_1) | instid1(VALU_DEP_1)
	v_add_co_ci_u32_e64 v9, s0, s2, v57, s0
	v_add_co_u32 v13, s0, s1, v54
	v_add_co_ci_u32_e64 v14, s0, s2, v55, s0
	s_clause 0x1
	global_load_b128 v[8:11], v[8:9], off
	global_load_b128 v[13:16], v[13:14], off
	ds_store_b128 v243, v[4:7]
	ds_store_b128 v12, v[0:3] offset:19968
	ds_load_b128 v[0:3], v248
	ds_load_b128 v[4:7], v12 offset:19136
	s_waitcnt lgkmcnt(0)
	v_add_f64 v[17:18], v[0:1], -v[4:5]
	v_add_f64 v[19:20], v[2:3], v[6:7]
	v_add_f64 v[2:3], v[2:3], -v[6:7]
	v_add_f64 v[0:1], v[0:1], v[4:5]
	s_delay_alu instid0(VALU_DEP_4) | instskip(NEXT) | instid1(VALU_DEP_4)
	v_mul_f64 v[6:7], v[17:18], 0.5
	v_mul_f64 v[17:18], v[19:20], 0.5
	s_delay_alu instid0(VALU_DEP_4) | instskip(SKIP_1) | instid1(VALU_DEP_3)
	v_mul_f64 v[2:3], v[2:3], 0.5
	s_waitcnt vmcnt(1)
	v_mul_f64 v[4:5], v[6:7], v[10:11]
	s_delay_alu instid0(VALU_DEP_2) | instskip(SKIP_1) | instid1(VALU_DEP_3)
	v_fma_f64 v[19:20], v[17:18], v[10:11], v[2:3]
	v_fma_f64 v[10:11], v[17:18], v[10:11], -v[2:3]
	v_fma_f64 v[21:22], v[0:1], 0.5, v[4:5]
	v_fma_f64 v[4:5], v[0:1], 0.5, -v[4:5]
	s_delay_alu instid0(VALU_DEP_4) | instskip(NEXT) | instid1(VALU_DEP_4)
	v_fma_f64 v[2:3], -v[8:9], v[6:7], v[19:20]
	v_fma_f64 v[6:7], -v[8:9], v[6:7], v[10:11]
	s_delay_alu instid0(VALU_DEP_4) | instskip(NEXT) | instid1(VALU_DEP_4)
	v_fma_f64 v[0:1], v[17:18], v[8:9], v[21:22]
	v_fma_f64 v[4:5], -v[17:18], v[8:9], v[4:5]
	v_add_co_u32 v8, s0, s1, v52
	s_delay_alu instid0(VALU_DEP_1)
	v_add_co_ci_u32_e64 v9, s0, s2, v53, s0
	global_load_b128 v[8:11], v[8:9], off
	ds_store_b128 v248, v[0:3]
	ds_store_b128 v12, v[4:7] offset:19136
	scratch_load_b32 v23, off, off offset:76 ; 4-byte Folded Reload
	s_waitcnt vmcnt(0)
	ds_load_b128 v[0:3], v23
	ds_load_b128 v[4:7], v12 offset:18304
	s_waitcnt lgkmcnt(0)
	v_add_f64 v[17:18], v[0:1], -v[4:5]
	v_add_f64 v[19:20], v[2:3], v[6:7]
	v_add_f64 v[2:3], v[2:3], -v[6:7]
	v_add_f64 v[0:1], v[0:1], v[4:5]
	s_delay_alu instid0(VALU_DEP_4) | instskip(NEXT) | instid1(VALU_DEP_4)
	v_mul_f64 v[6:7], v[17:18], 0.5
	v_mul_f64 v[17:18], v[19:20], 0.5
	s_delay_alu instid0(VALU_DEP_4) | instskip(NEXT) | instid1(VALU_DEP_3)
	v_mul_f64 v[2:3], v[2:3], 0.5
	v_mul_f64 v[4:5], v[6:7], v[15:16]
	s_delay_alu instid0(VALU_DEP_2) | instskip(SKIP_1) | instid1(VALU_DEP_3)
	v_fma_f64 v[19:20], v[17:18], v[15:16], v[2:3]
	v_fma_f64 v[15:16], v[17:18], v[15:16], -v[2:3]
	v_fma_f64 v[21:22], v[0:1], 0.5, v[4:5]
	v_fma_f64 v[4:5], v[0:1], 0.5, -v[4:5]
	s_delay_alu instid0(VALU_DEP_4) | instskip(NEXT) | instid1(VALU_DEP_4)
	v_fma_f64 v[2:3], -v[13:14], v[6:7], v[19:20]
	v_fma_f64 v[6:7], -v[13:14], v[6:7], v[15:16]
	s_delay_alu instid0(VALU_DEP_4) | instskip(NEXT) | instid1(VALU_DEP_4)
	v_fma_f64 v[0:1], v[17:18], v[13:14], v[21:22]
	v_fma_f64 v[4:5], -v[17:18], v[13:14], v[4:5]
	v_add_co_u32 v13, s0, s1, v50
	s_delay_alu instid0(VALU_DEP_1)
	v_add_co_ci_u32_e64 v14, s0, s2, v51, s0
	global_load_b128 v[13:16], v[13:14], off
	ds_store_b128 v23, v[0:3]
	ds_store_b128 v12, v[4:7] offset:18304
	ds_load_b128 v[0:3], v255
	ds_load_b128 v[4:7], v12 offset:17472
	s_waitcnt lgkmcnt(0)
	v_add_f64 v[17:18], v[0:1], -v[4:5]
	v_add_f64 v[19:20], v[2:3], v[6:7]
	v_add_f64 v[2:3], v[2:3], -v[6:7]
	v_add_f64 v[0:1], v[0:1], v[4:5]
	s_delay_alu instid0(VALU_DEP_4) | instskip(NEXT) | instid1(VALU_DEP_4)
	v_mul_f64 v[6:7], v[17:18], 0.5
	v_mul_f64 v[17:18], v[19:20], 0.5
	s_delay_alu instid0(VALU_DEP_4) | instskip(NEXT) | instid1(VALU_DEP_3)
	v_mul_f64 v[2:3], v[2:3], 0.5
	v_mul_f64 v[4:5], v[6:7], v[10:11]
	s_delay_alu instid0(VALU_DEP_2) | instskip(SKIP_1) | instid1(VALU_DEP_3)
	v_fma_f64 v[19:20], v[17:18], v[10:11], v[2:3]
	v_fma_f64 v[10:11], v[17:18], v[10:11], -v[2:3]
	v_fma_f64 v[21:22], v[0:1], 0.5, v[4:5]
	v_fma_f64 v[4:5], v[0:1], 0.5, -v[4:5]
	s_delay_alu instid0(VALU_DEP_4) | instskip(NEXT) | instid1(VALU_DEP_4)
	v_fma_f64 v[2:3], -v[8:9], v[6:7], v[19:20]
	v_fma_f64 v[6:7], -v[8:9], v[6:7], v[10:11]
	s_delay_alu instid0(VALU_DEP_4) | instskip(NEXT) | instid1(VALU_DEP_4)
	v_fma_f64 v[0:1], v[17:18], v[8:9], v[21:22]
	v_fma_f64 v[4:5], -v[17:18], v[8:9], v[4:5]
	v_add_co_u32 v8, s0, s1, v48
	s_delay_alu instid0(VALU_DEP_1)
	v_add_co_ci_u32_e64 v9, s0, s2, v49, s0
	global_load_b128 v[8:11], v[8:9], off
	ds_store_b128 v255, v[0:3]
	ds_store_b128 v12, v[4:7] offset:17472
	scratch_load_b32 v23, off, off offset:72 ; 4-byte Folded Reload
	s_waitcnt vmcnt(0)
	ds_load_b128 v[0:3], v23
	ds_load_b128 v[4:7], v12 offset:16640
	s_waitcnt lgkmcnt(0)
	v_add_f64 v[17:18], v[0:1], -v[4:5]
	v_add_f64 v[19:20], v[2:3], v[6:7]
	v_add_f64 v[2:3], v[2:3], -v[6:7]
	v_add_f64 v[0:1], v[0:1], v[4:5]
	s_delay_alu instid0(VALU_DEP_4) | instskip(NEXT) | instid1(VALU_DEP_4)
	v_mul_f64 v[6:7], v[17:18], 0.5
	v_mul_f64 v[17:18], v[19:20], 0.5
	s_delay_alu instid0(VALU_DEP_4) | instskip(NEXT) | instid1(VALU_DEP_3)
	v_mul_f64 v[2:3], v[2:3], 0.5
	v_mul_f64 v[4:5], v[6:7], v[15:16]
	s_delay_alu instid0(VALU_DEP_2) | instskip(SKIP_1) | instid1(VALU_DEP_3)
	v_fma_f64 v[19:20], v[17:18], v[15:16], v[2:3]
	v_fma_f64 v[15:16], v[17:18], v[15:16], -v[2:3]
	v_fma_f64 v[21:22], v[0:1], 0.5, v[4:5]
	v_fma_f64 v[4:5], v[0:1], 0.5, -v[4:5]
	s_delay_alu instid0(VALU_DEP_4) | instskip(NEXT) | instid1(VALU_DEP_4)
	v_fma_f64 v[2:3], -v[13:14], v[6:7], v[19:20]
	v_fma_f64 v[6:7], -v[13:14], v[6:7], v[15:16]
	s_delay_alu instid0(VALU_DEP_4) | instskip(NEXT) | instid1(VALU_DEP_4)
	v_fma_f64 v[0:1], v[17:18], v[13:14], v[21:22]
	v_fma_f64 v[4:5], -v[17:18], v[13:14], v[4:5]
	v_add_co_u32 v13, s0, s1, v34
	s_delay_alu instid0(VALU_DEP_1)
	v_add_co_ci_u32_e64 v14, s0, s2, v35, s0
	global_load_b128 v[13:16], v[13:14], off
	ds_store_b128 v23, v[0:3]
	ds_store_b128 v12, v[4:7] offset:16640
	scratch_load_b32 v23, off, off offset:28 ; 4-byte Folded Reload
	s_waitcnt vmcnt(0)
	ds_load_b128 v[0:3], v23
	ds_load_b128 v[4:7], v12 offset:15808
	s_waitcnt lgkmcnt(0)
	v_add_f64 v[17:18], v[0:1], -v[4:5]
	v_add_f64 v[19:20], v[2:3], v[6:7]
	v_add_f64 v[2:3], v[2:3], -v[6:7]
	v_add_f64 v[0:1], v[0:1], v[4:5]
	s_delay_alu instid0(VALU_DEP_4) | instskip(NEXT) | instid1(VALU_DEP_4)
	v_mul_f64 v[6:7], v[17:18], 0.5
	v_mul_f64 v[17:18], v[19:20], 0.5
	s_delay_alu instid0(VALU_DEP_4) | instskip(NEXT) | instid1(VALU_DEP_3)
	v_mul_f64 v[2:3], v[2:3], 0.5
	v_mul_f64 v[4:5], v[6:7], v[10:11]
	s_delay_alu instid0(VALU_DEP_2) | instskip(SKIP_1) | instid1(VALU_DEP_3)
	v_fma_f64 v[19:20], v[17:18], v[10:11], v[2:3]
	v_fma_f64 v[10:11], v[17:18], v[10:11], -v[2:3]
	v_fma_f64 v[21:22], v[0:1], 0.5, v[4:5]
	v_fma_f64 v[4:5], v[0:1], 0.5, -v[4:5]
	s_delay_alu instid0(VALU_DEP_4) | instskip(NEXT) | instid1(VALU_DEP_4)
	v_fma_f64 v[2:3], -v[8:9], v[6:7], v[19:20]
	v_fma_f64 v[6:7], -v[8:9], v[6:7], v[10:11]
	s_delay_alu instid0(VALU_DEP_4) | instskip(NEXT) | instid1(VALU_DEP_4)
	v_fma_f64 v[0:1], v[17:18], v[8:9], v[21:22]
	v_fma_f64 v[4:5], -v[17:18], v[8:9], v[4:5]
	v_add_co_u32 v8, s0, s1, v32
	s_delay_alu instid0(VALU_DEP_1)
	v_add_co_ci_u32_e64 v9, s0, s2, v33, s0
	global_load_b128 v[8:11], v[8:9], off
	ds_store_b128 v23, v[0:3]
	ds_store_b128 v12, v[4:7] offset:15808
	ds_load_b128 v[0:3], v105
	ds_load_b128 v[4:7], v12 offset:14976
	s_waitcnt lgkmcnt(0)
	v_add_f64 v[17:18], v[0:1], -v[4:5]
	v_add_f64 v[19:20], v[2:3], v[6:7]
	v_add_f64 v[2:3], v[2:3], -v[6:7]
	v_add_f64 v[0:1], v[0:1], v[4:5]
	s_delay_alu instid0(VALU_DEP_4) | instskip(NEXT) | instid1(VALU_DEP_4)
	v_mul_f64 v[6:7], v[17:18], 0.5
	v_mul_f64 v[17:18], v[19:20], 0.5
	s_delay_alu instid0(VALU_DEP_4) | instskip(NEXT) | instid1(VALU_DEP_3)
	v_mul_f64 v[2:3], v[2:3], 0.5
	v_mul_f64 v[4:5], v[6:7], v[15:16]
	s_delay_alu instid0(VALU_DEP_2) | instskip(SKIP_1) | instid1(VALU_DEP_3)
	v_fma_f64 v[19:20], v[17:18], v[15:16], v[2:3]
	v_fma_f64 v[15:16], v[17:18], v[15:16], -v[2:3]
	v_fma_f64 v[21:22], v[0:1], 0.5, v[4:5]
	v_fma_f64 v[4:5], v[0:1], 0.5, -v[4:5]
	s_delay_alu instid0(VALU_DEP_4) | instskip(NEXT) | instid1(VALU_DEP_4)
	v_fma_f64 v[2:3], -v[13:14], v[6:7], v[19:20]
	v_fma_f64 v[6:7], -v[13:14], v[6:7], v[15:16]
	s_delay_alu instid0(VALU_DEP_4) | instskip(NEXT) | instid1(VALU_DEP_4)
	v_fma_f64 v[0:1], v[17:18], v[13:14], v[21:22]
	v_fma_f64 v[4:5], -v[17:18], v[13:14], v[4:5]
	v_add_co_u32 v13, s0, s1, v30
	s_delay_alu instid0(VALU_DEP_1)
	v_add_co_ci_u32_e64 v14, s0, s2, v31, s0
	global_load_b128 v[13:16], v[13:14], off
	ds_store_b128 v105, v[0:3]
	ds_store_b128 v12, v[4:7] offset:14976
	ds_load_b128 v[0:3], v104
	ds_load_b128 v[4:7], v12 offset:14144
	s_waitcnt lgkmcnt(0)
	v_add_f64 v[17:18], v[0:1], -v[4:5]
	v_add_f64 v[19:20], v[2:3], v[6:7]
	v_add_f64 v[2:3], v[2:3], -v[6:7]
	v_add_f64 v[0:1], v[0:1], v[4:5]
	s_delay_alu instid0(VALU_DEP_4) | instskip(NEXT) | instid1(VALU_DEP_4)
	v_mul_f64 v[6:7], v[17:18], 0.5
	v_mul_f64 v[17:18], v[19:20], 0.5
	s_delay_alu instid0(VALU_DEP_4) | instskip(SKIP_1) | instid1(VALU_DEP_3)
	v_mul_f64 v[2:3], v[2:3], 0.5
	s_waitcnt vmcnt(1)
	v_mul_f64 v[4:5], v[6:7], v[10:11]
	s_delay_alu instid0(VALU_DEP_2) | instskip(SKIP_1) | instid1(VALU_DEP_3)
	v_fma_f64 v[19:20], v[17:18], v[10:11], v[2:3]
	v_fma_f64 v[10:11], v[17:18], v[10:11], -v[2:3]
	v_fma_f64 v[21:22], v[0:1], 0.5, v[4:5]
	v_fma_f64 v[4:5], v[0:1], 0.5, -v[4:5]
	s_delay_alu instid0(VALU_DEP_4) | instskip(NEXT) | instid1(VALU_DEP_4)
	v_fma_f64 v[2:3], -v[8:9], v[6:7], v[19:20]
	v_fma_f64 v[6:7], -v[8:9], v[6:7], v[10:11]
	s_delay_alu instid0(VALU_DEP_4) | instskip(NEXT) | instid1(VALU_DEP_4)
	v_fma_f64 v[0:1], v[17:18], v[8:9], v[21:22]
	v_fma_f64 v[4:5], -v[17:18], v[8:9], v[4:5]
	v_add_co_u32 v8, s0, s1, v28
	s_delay_alu instid0(VALU_DEP_1)
	v_add_co_ci_u32_e64 v9, s0, s2, v29, s0
	global_load_b128 v[8:11], v[8:9], off
	ds_store_b128 v104, v[0:3]
	ds_store_b128 v12, v[4:7] offset:14144
	ds_load_b128 v[0:3], v103
	ds_load_b128 v[4:7], v12 offset:13312
	s_waitcnt lgkmcnt(0)
	v_add_f64 v[17:18], v[0:1], -v[4:5]
	v_add_f64 v[19:20], v[2:3], v[6:7]
	v_add_f64 v[2:3], v[2:3], -v[6:7]
	v_add_f64 v[0:1], v[0:1], v[4:5]
	s_delay_alu instid0(VALU_DEP_4) | instskip(NEXT) | instid1(VALU_DEP_4)
	v_mul_f64 v[6:7], v[17:18], 0.5
	v_mul_f64 v[17:18], v[19:20], 0.5
	s_delay_alu instid0(VALU_DEP_4) | instskip(SKIP_1) | instid1(VALU_DEP_3)
	v_mul_f64 v[2:3], v[2:3], 0.5
	s_waitcnt vmcnt(1)
	;; [unrolled: 31-line block ×4, first 2 shown]
	v_mul_f64 v[4:5], v[6:7], v[15:16]
	s_delay_alu instid0(VALU_DEP_2) | instskip(SKIP_1) | instid1(VALU_DEP_3)
	v_fma_f64 v[19:20], v[17:18], v[15:16], v[2:3]
	v_fma_f64 v[15:16], v[17:18], v[15:16], -v[2:3]
	v_fma_f64 v[21:22], v[0:1], 0.5, v[4:5]
	v_fma_f64 v[4:5], v[0:1], 0.5, -v[4:5]
	s_delay_alu instid0(VALU_DEP_4) | instskip(NEXT) | instid1(VALU_DEP_4)
	v_fma_f64 v[2:3], -v[13:14], v[6:7], v[19:20]
	v_fma_f64 v[6:7], -v[13:14], v[6:7], v[15:16]
	s_delay_alu instid0(VALU_DEP_4) | instskip(NEXT) | instid1(VALU_DEP_4)
	v_fma_f64 v[0:1], v[17:18], v[13:14], v[21:22]
	v_fma_f64 v[4:5], -v[17:18], v[13:14], v[4:5]
	ds_store_b128 v101, v[0:3]
	ds_store_b128 v12, v[4:7] offset:11648
	ds_load_b128 v[0:3], v100
	ds_load_b128 v[4:7], v12 offset:10816
	s_waitcnt lgkmcnt(0)
	v_add_f64 v[13:14], v[0:1], -v[4:5]
	v_add_f64 v[15:16], v[2:3], v[6:7]
	v_add_f64 v[2:3], v[2:3], -v[6:7]
	v_add_f64 v[0:1], v[0:1], v[4:5]
	s_delay_alu instid0(VALU_DEP_4) | instskip(NEXT) | instid1(VALU_DEP_4)
	v_mul_f64 v[6:7], v[13:14], 0.5
	v_mul_f64 v[13:14], v[15:16], 0.5
	s_delay_alu instid0(VALU_DEP_4) | instskip(SKIP_1) | instid1(VALU_DEP_3)
	v_mul_f64 v[2:3], v[2:3], 0.5
	s_waitcnt vmcnt(0)
	v_mul_f64 v[4:5], v[6:7], v[10:11]
	s_delay_alu instid0(VALU_DEP_2) | instskip(SKIP_1) | instid1(VALU_DEP_3)
	v_fma_f64 v[15:16], v[13:14], v[10:11], v[2:3]
	v_fma_f64 v[10:11], v[13:14], v[10:11], -v[2:3]
	v_fma_f64 v[17:18], v[0:1], 0.5, v[4:5]
	v_fma_f64 v[4:5], v[0:1], 0.5, -v[4:5]
	s_delay_alu instid0(VALU_DEP_4) | instskip(NEXT) | instid1(VALU_DEP_4)
	v_fma_f64 v[2:3], -v[8:9], v[6:7], v[15:16]
	v_fma_f64 v[6:7], -v[8:9], v[6:7], v[10:11]
	s_delay_alu instid0(VALU_DEP_4) | instskip(NEXT) | instid1(VALU_DEP_4)
	v_fma_f64 v[0:1], v[13:14], v[8:9], v[17:18]
	v_fma_f64 v[4:5], -v[13:14], v[8:9], v[4:5]
	ds_store_b128 v100, v[0:3]
	ds_store_b128 v12, v[4:7] offset:10816
	s_waitcnt lgkmcnt(0)
	s_barrier
	buffer_gl0_inv
	s_and_saveexec_b32 s0, vcc_lo
	s_cbranch_execz .LBB0_24
; %bb.22:
	scratch_load_b64 v[0:1], off, off offset:16 ; 8-byte Folded Reload
	ds_load_b128 v[2:5], v243
	ds_load_b128 v[6:9], v243 offset:832
	ds_load_b128 v[10:13], v243 offset:1664
	;; [unrolled: 1-line block ×11, first 2 shown]
	s_waitcnt vmcnt(0)
	v_add_co_u32 v0, vcc_lo, s8, v0
	v_add_co_ci_u32_e32 v1, vcc_lo, s9, v1, vcc_lo
	s_delay_alu instid0(VALU_DEP_2) | instskip(NEXT) | instid1(VALU_DEP_2)
	v_add_co_u32 v50, vcc_lo, v0, v96
	v_add_co_ci_u32_e32 v51, vcc_lo, v1, v97, vcc_lo
	s_delay_alu instid0(VALU_DEP_2) | instskip(NEXT) | instid1(VALU_DEP_2)
	v_add_co_u32 v52, vcc_lo, 0x1000, v50
	v_add_co_ci_u32_e32 v53, vcc_lo, 0, v51, vcc_lo
	s_waitcnt lgkmcnt(11)
	global_store_b128 v[50:51], v[2:5], off
	s_waitcnt lgkmcnt(10)
	global_store_b128 v[50:51], v[6:9], off offset:832
	s_waitcnt lgkmcnt(9)
	global_store_b128 v[50:51], v[10:13], off offset:1664
	;; [unrolled: 2-line block ×9, first 2 shown]
	v_add_co_u32 v52, vcc_lo, 0x2000, v50
	v_add_co_ci_u32_e32 v53, vcc_lo, 0, v51, vcc_lo
	ds_load_b128 v[2:5], v243 offset:9984
	ds_load_b128 v[6:9], v243 offset:10816
	;; [unrolled: 1-line block ×4, first 2 shown]
	s_waitcnt lgkmcnt(5)
	global_store_b128 v[52:53], v[42:45], off offset:128
	s_waitcnt lgkmcnt(4)
	global_store_b128 v[52:53], v[46:49], off offset:960
	scratch_load_b64 v[18:19], off, off     ; 8-byte Folded Reload
	v_add_co_u32 v54, vcc_lo, 0x3000, v50
	v_add_co_ci_u32_e32 v55, vcc_lo, 0, v51, vcc_lo
	v_mov_b32_e32 v31, 0
	s_delay_alu instid0(VALU_DEP_1)
	v_mov_b32_e32 v58, v31
	s_waitcnt vmcnt(0)
	v_mov_b32_e32 v30, v18
	ds_load_b128 v[18:21], v243 offset:13312
	ds_load_b128 v[22:25], v243 offset:14144
	;; [unrolled: 1-line block ×3, first 2 shown]
	v_lshlrev_b64 v[56:57], 4, v[30:31]
	ds_load_b128 v[30:33], v243 offset:15808
	ds_load_b128 v[34:37], v243 offset:16640
	;; [unrolled: 1-line block ×5, first 2 shown]
	s_waitcnt lgkmcnt(11)
	global_store_b128 v[52:53], v[2:5], off offset:1792
	s_waitcnt lgkmcnt(10)
	global_store_b128 v[52:53], v[6:9], off offset:2624
	;; [unrolled: 2-line block ×4, first 2 shown]
	v_add_co_u32 v2, vcc_lo, v0, v56
	v_add_co_ci_u32_e32 v3, vcc_lo, v1, v57, vcc_lo
	v_add_co_u32 v4, vcc_lo, 0x4000, v50
	v_add_co_ci_u32_e32 v5, vcc_lo, 0, v51, vcc_lo
	v_cmp_eq_u32_e32 vcc_lo, 51, v116
	s_waitcnt lgkmcnt(6)
	global_store_b128 v[54:55], v[22:25], off offset:1856
	s_waitcnt lgkmcnt(5)
	s_clause 0x1
	global_store_b128 v[54:55], v[26:29], off offset:2688
	global_store_b128 v[2:3], v[18:21], off
	s_waitcnt lgkmcnt(4)
	global_store_b128 v[54:55], v[30:33], off offset:3520
	s_waitcnt lgkmcnt(3)
	global_store_b128 v[4:5], v[34:37], off offset:256
	;; [unrolled: 2-line block ×5, first 2 shown]
	s_and_b32 exec_lo, exec_lo, vcc_lo
	s_cbranch_execz .LBB0_24
; %bb.23:
	ds_load_b128 v[2:5], v58 offset:19968
	v_add_co_u32 v0, vcc_lo, 0x4000, v0
	v_add_co_ci_u32_e32 v1, vcc_lo, 0, v1, vcc_lo
	s_waitcnt lgkmcnt(0)
	global_store_b128 v[0:1], v[2:5], off offset:3584
.LBB0_24:
	s_nop 0
	s_sendmsg sendmsg(MSG_DEALLOC_VGPRS)
	s_endpgm
	.section	.rodata,"a",@progbits
	.p2align	6, 0x0
	.amdhsa_kernel fft_rtc_fwd_len1248_factors_2_2_13_2_3_2_2_wgs_52_tpt_52_halfLds_dp_ip_CI_unitstride_sbrr_R2C_dirReg
		.amdhsa_group_segment_fixed_size 0
		.amdhsa_private_segment_fixed_size 452
		.amdhsa_kernarg_size 88
		.amdhsa_user_sgpr_count 15
		.amdhsa_user_sgpr_dispatch_ptr 0
		.amdhsa_user_sgpr_queue_ptr 0
		.amdhsa_user_sgpr_kernarg_segment_ptr 1
		.amdhsa_user_sgpr_dispatch_id 0
		.amdhsa_user_sgpr_private_segment_size 0
		.amdhsa_wavefront_size32 1
		.amdhsa_uses_dynamic_stack 0
		.amdhsa_enable_private_segment 1
		.amdhsa_system_sgpr_workgroup_id_x 1
		.amdhsa_system_sgpr_workgroup_id_y 0
		.amdhsa_system_sgpr_workgroup_id_z 0
		.amdhsa_system_sgpr_workgroup_info 0
		.amdhsa_system_vgpr_workitem_id 0
		.amdhsa_next_free_vgpr 256
		.amdhsa_next_free_sgpr 44
		.amdhsa_reserve_vcc 1
		.amdhsa_float_round_mode_32 0
		.amdhsa_float_round_mode_16_64 0
		.amdhsa_float_denorm_mode_32 3
		.amdhsa_float_denorm_mode_16_64 3
		.amdhsa_dx10_clamp 1
		.amdhsa_ieee_mode 1
		.amdhsa_fp16_overflow 0
		.amdhsa_workgroup_processor_mode 1
		.amdhsa_memory_ordered 1
		.amdhsa_forward_progress 0
		.amdhsa_shared_vgpr_count 0
		.amdhsa_exception_fp_ieee_invalid_op 0
		.amdhsa_exception_fp_denorm_src 0
		.amdhsa_exception_fp_ieee_div_zero 0
		.amdhsa_exception_fp_ieee_overflow 0
		.amdhsa_exception_fp_ieee_underflow 0
		.amdhsa_exception_fp_ieee_inexact 0
		.amdhsa_exception_int_div_zero 0
	.end_amdhsa_kernel
	.text
.Lfunc_end0:
	.size	fft_rtc_fwd_len1248_factors_2_2_13_2_3_2_2_wgs_52_tpt_52_halfLds_dp_ip_CI_unitstride_sbrr_R2C_dirReg, .Lfunc_end0-fft_rtc_fwd_len1248_factors_2_2_13_2_3_2_2_wgs_52_tpt_52_halfLds_dp_ip_CI_unitstride_sbrr_R2C_dirReg
                                        ; -- End function
	.section	.AMDGPU.csdata,"",@progbits
; Kernel info:
; codeLenInByte = 26300
; NumSgprs: 46
; NumVgprs: 256
; ScratchSize: 452
; MemoryBound: 0
; FloatMode: 240
; IeeeMode: 1
; LDSByteSize: 0 bytes/workgroup (compile time only)
; SGPRBlocks: 5
; VGPRBlocks: 31
; NumSGPRsForWavesPerEU: 46
; NumVGPRsForWavesPerEU: 256
; Occupancy: 5
; WaveLimiterHint : 1
; COMPUTE_PGM_RSRC2:SCRATCH_EN: 1
; COMPUTE_PGM_RSRC2:USER_SGPR: 15
; COMPUTE_PGM_RSRC2:TRAP_HANDLER: 0
; COMPUTE_PGM_RSRC2:TGID_X_EN: 1
; COMPUTE_PGM_RSRC2:TGID_Y_EN: 0
; COMPUTE_PGM_RSRC2:TGID_Z_EN: 0
; COMPUTE_PGM_RSRC2:TIDIG_COMP_CNT: 0
	.text
	.p2alignl 7, 3214868480
	.fill 96, 4, 3214868480
	.type	__hip_cuid_7650167352968795,@object ; @__hip_cuid_7650167352968795
	.section	.bss,"aw",@nobits
	.globl	__hip_cuid_7650167352968795
__hip_cuid_7650167352968795:
	.byte	0                               ; 0x0
	.size	__hip_cuid_7650167352968795, 1

	.ident	"AMD clang version 19.0.0git (https://github.com/RadeonOpenCompute/llvm-project roc-6.4.0 25133 c7fe45cf4b819c5991fe208aaa96edf142730f1d)"
	.section	".note.GNU-stack","",@progbits
	.addrsig
	.addrsig_sym __hip_cuid_7650167352968795
	.amdgpu_metadata
---
amdhsa.kernels:
  - .args:
      - .actual_access:  read_only
        .address_space:  global
        .offset:         0
        .size:           8
        .value_kind:     global_buffer
      - .offset:         8
        .size:           8
        .value_kind:     by_value
      - .actual_access:  read_only
        .address_space:  global
        .offset:         16
        .size:           8
        .value_kind:     global_buffer
      - .actual_access:  read_only
        .address_space:  global
        .offset:         24
        .size:           8
        .value_kind:     global_buffer
      - .offset:         32
        .size:           8
        .value_kind:     by_value
      - .actual_access:  read_only
        .address_space:  global
        .offset:         40
        .size:           8
        .value_kind:     global_buffer
      - .actual_access:  read_only
        .address_space:  global
        .offset:         48
        .size:           8
        .value_kind:     global_buffer
      - .offset:         56
        .size:           4
        .value_kind:     by_value
      - .actual_access:  read_only
        .address_space:  global
        .offset:         64
        .size:           8
        .value_kind:     global_buffer
      - .actual_access:  read_only
        .address_space:  global
        .offset:         72
        .size:           8
        .value_kind:     global_buffer
      - .address_space:  global
        .offset:         80
        .size:           8
        .value_kind:     global_buffer
    .group_segment_fixed_size: 0
    .kernarg_segment_align: 8
    .kernarg_segment_size: 88
    .language:       OpenCL C
    .language_version:
      - 2
      - 0
    .max_flat_workgroup_size: 52
    .name:           fft_rtc_fwd_len1248_factors_2_2_13_2_3_2_2_wgs_52_tpt_52_halfLds_dp_ip_CI_unitstride_sbrr_R2C_dirReg
    .private_segment_fixed_size: 452
    .sgpr_count:     46
    .sgpr_spill_count: 0
    .symbol:         fft_rtc_fwd_len1248_factors_2_2_13_2_3_2_2_wgs_52_tpt_52_halfLds_dp_ip_CI_unitstride_sbrr_R2C_dirReg.kd
    .uniform_work_group_size: 1
    .uses_dynamic_stack: false
    .vgpr_count:     256
    .vgpr_spill_count: 146
    .wavefront_size: 32
    .workgroup_processor_mode: 1
amdhsa.target:   amdgcn-amd-amdhsa--gfx1100
amdhsa.version:
  - 1
  - 2
...

	.end_amdgpu_metadata
